;; amdgpu-corpus repo=ROCm/rocFFT kind=compiled arch=gfx1100 opt=O3
	.text
	.amdgcn_target "amdgcn-amd-amdhsa--gfx1100"
	.amdhsa_code_object_version 6
	.protected	bluestein_single_back_len2016_dim1_half_op_CI_CI ; -- Begin function bluestein_single_back_len2016_dim1_half_op_CI_CI
	.globl	bluestein_single_back_len2016_dim1_half_op_CI_CI
	.p2align	8
	.type	bluestein_single_back_len2016_dim1_half_op_CI_CI,@function
bluestein_single_back_len2016_dim1_half_op_CI_CI: ; @bluestein_single_back_len2016_dim1_half_op_CI_CI
; %bb.0:
	s_load_b128 s[16:19], s[0:1], 0x28
	v_mul_u32_u24_e32 v1, 0x24a, v0
	v_mov_b32_e32 v13, 0
	s_mov_b32 s2, exec_lo
	s_delay_alu instid0(VALU_DEP_2) | instskip(NEXT) | instid1(VALU_DEP_1)
	v_lshrrev_b32_e32 v3, 16, v1
	v_lshl_add_u32 v12, s15, 1, v3
	s_waitcnt lgkmcnt(0)
	s_delay_alu instid0(VALU_DEP_1)
	v_cmpx_gt_u64_e64 s[16:17], v[12:13]
	s_cbranch_execz .LBB0_10
; %bb.1:
	s_clause 0x1
	s_load_b128 s[4:7], s[0:1], 0x18
	s_load_b128 s[8:11], s[0:1], 0x0
	v_mul_lo_u16 v1, 0x70, v3
	s_delay_alu instid0(VALU_DEP_1)
	v_sub_nc_u16 v2, v0, v1
	s_waitcnt lgkmcnt(0)
	s_load_b128 s[12:15], s[4:5], 0x0
	s_waitcnt lgkmcnt(0)
	v_mad_u64_u32 v[6:7], null, s14, v12, 0
	v_and_b32_e32 v77, 0xffff, v2
	s_mul_hi_u32 s3, s12, 0xfc0
	s_mul_i32 s4, s12, 0xfc0
	s_mul_hi_u32 s14, s12, 0xfffff200
	s_mul_i32 s5, s13, 0xfffff200
	v_lshlrev_b32_e32 v1, 2, v77
	s_delay_alu instid0(VALU_DEP_1) | instskip(NEXT) | instid1(VALU_DEP_1)
	v_add_co_u32 v0, s2, s8, v1
	v_add_co_ci_u32_e64 v5, null, s9, 0, s2
	s_mul_i32 s2, s13, 0xfc0
	s_delay_alu instid0(VALU_DEP_2)
	v_add_co_u32 v4, vcc_lo, 0x1000, v0
	v_mov_b32_e32 v0, v7
	v_or_b32_e32 v50, 0x700, v77
	v_or_b32_e32 v49, 0x380, v77
	v_mad_u64_u32 v[8:9], null, s12, v77, 0
	v_add_co_ci_u32_e32 v5, vcc_lo, 0, v5, vcc_lo
	s_delay_alu instid0(VALU_DEP_4) | instskip(NEXT) | instid1(VALU_DEP_4)
	v_mad_u64_u32 v[10:11], null, s12, v50, 0
	v_mad_u64_u32 v[13:14], null, s12, v49, 0
	s_delay_alu instid0(VALU_DEP_4) | instskip(SKIP_3) | instid1(VALU_DEP_4)
	v_mov_b32_e32 v7, v9
	s_add_i32 s3, s3, s2
	v_lshlrev_b32_e32 v89, 2, v50
	s_sub_i32 s2, s14, s12
	v_mov_b32_e32 v9, v11
	s_add_i32 s2, s2, s5
	s_delay_alu instid0(VALU_DEP_4) | instskip(SKIP_3) | instid1(VALU_DEP_4)
	v_mov_b32_e32 v11, v14
	v_mad_u64_u32 v[14:15], null, s15, v12, v[0:1]
	v_mad_u64_u32 v[15:16], null, s13, v77, v[7:8]
	;; [unrolled: 1-line block ×4, first 2 shown]
	s_delay_alu instid0(VALU_DEP_4) | instskip(SKIP_1) | instid1(VALU_DEP_4)
	v_mov_b32_e32 v7, v14
	s_mul_i32 s5, s12, 0xfffff200
	v_mov_b32_e32 v9, v15
	v_add_co_u32 v18, null, 0x230, v77
	s_delay_alu instid0(VALU_DEP_3) | instskip(SKIP_1) | instid1(VALU_DEP_4)
	v_lshlrev_b64 v[6:7], 2, v[6:7]
	v_mov_b32_e32 v11, v16
	v_lshlrev_b64 v[8:9], 2, v[8:9]
	v_mov_b32_e32 v14, v17
	s_clause 0x9
	global_load_b32 v84, v1, s[8:9]
	global_load_b32 v81, v1, s[8:9] offset:448
	global_load_b32 v76, v1, s[8:9] offset:896
	;; [unrolled: 1-line block ×9, first 2 shown]
	v_add_co_u32 v0, vcc_lo, s18, v6
	v_add_co_ci_u32_e32 v15, vcc_lo, s19, v7, vcc_lo
	v_lshlrev_b64 v[10:11], 2, v[10:11]
	s_delay_alu instid0(VALU_DEP_3) | instskip(NEXT) | instid1(VALU_DEP_3)
	v_add_co_u32 v8, vcc_lo, v0, v8
	v_add_co_ci_u32_e32 v9, vcc_lo, v15, v9, vcc_lo
	v_lshlrev_b64 v[6:7], 2, v[13:14]
	s_delay_alu instid0(VALU_DEP_4)
	v_add_co_u32 v10, vcc_lo, v0, v10
	v_add_co_ci_u32_e32 v11, vcc_lo, v15, v11, vcc_lo
	global_load_b32 v19, v[8:9], off
	v_add_co_u32 v8, vcc_lo, v8, s4
	v_add_co_ci_u32_e32 v9, vcc_lo, s3, v9, vcc_lo
	v_add_co_u32 v6, vcc_lo, v0, v6
	v_add_co_ci_u32_e32 v7, vcc_lo, v15, v7, vcc_lo
	s_clause 0x7
	global_load_b32 v53, v89, s[8:9]
	global_load_b32 v79, v[4:5], off offset:384
	global_load_b32 v74, v[4:5], off offset:832
	;; [unrolled: 1-line block ×7, first 2 shown]
	v_add_co_u32 v4, vcc_lo, v8, s5
	v_add_co_ci_u32_e32 v5, vcc_lo, s2, v9, vcc_lo
	s_clause 0x1
	global_load_b32 v20, v[10:11], off
	global_load_b32 v21, v[6:7], off
	v_add_co_u32 v6, vcc_lo, v4, s4
	v_add_co_ci_u32_e32 v7, vcc_lo, s3, v5, vcc_lo
	s_clause 0x1
	global_load_b32 v22, v[8:9], off
	global_load_b32 v23, v[4:5], off
	v_add_co_u32 v17, null, 0x150, v77
	global_load_b32 v24, v[6:7], off
	v_add_co_u32 v8, vcc_lo, v6, s5
	v_add_co_ci_u32_e32 v9, vcc_lo, s2, v7, vcc_lo
	s_delay_alu instid0(VALU_DEP_2) | instskip(NEXT) | instid1(VALU_DEP_2)
	v_add_co_u32 v4, vcc_lo, v8, s4
	v_add_co_ci_u32_e32 v5, vcc_lo, s3, v9, vcc_lo
	global_load_b32 v25, v[8:9], off
	v_add_co_u32 v6, vcc_lo, v4, s5
	v_add_co_ci_u32_e32 v7, vcc_lo, s2, v5, vcc_lo
	global_load_b32 v26, v[4:5], off
	;; [unrolled: 3-line block ×8, first 2 shown]
	global_load_b32 v33, v[10:11], off
	v_add_co_u32 v8, vcc_lo, v10, s4
	v_add_co_ci_u32_e32 v9, vcc_lo, s3, v11, vcc_lo
	v_add_co_u32 v13, null, 0x70, v77
	s_delay_alu instid0(VALU_DEP_3) | instskip(NEXT) | instid1(VALU_DEP_3)
	v_add_co_u32 v15, vcc_lo, v8, s5
	v_add_co_ci_u32_e32 v16, vcc_lo, s2, v9, vcc_lo
	v_add_co_u32 v14, null, 0x1c0, v77
	s_delay_alu instid0(VALU_DEP_2) | instskip(NEXT) | instid1(VALU_DEP_1)
	v_mad_u64_u32 v[4:5], null, 0x1180, s12, v[15:16]
	v_mov_b32_e32 v0, v5
	s_delay_alu instid0(VALU_DEP_1)
	v_mad_u64_u32 v[5:6], null, 0x1180, s13, v[0:1]
	global_load_b32 v34, v[8:9], off
	global_load_b32 v15, v[15:16], off
	;; [unrolled: 1-line block ×3, first 2 shown]
	v_and_b32_e32 v0, 1, v3
	s_load_b128 s[4:7], s[6:7], 0x0
	v_and_b32_e32 v16, 1, v77
	v_add_co_u32 v3, null, 0xe0, v77
	s_delay_alu instid0(VALU_DEP_3) | instskip(NEXT) | instid1(VALU_DEP_3)
	v_cmp_eq_u32_e32 vcc_lo, 1, v0
	v_lshlrev_b32_e32 v46, 2, v16
	v_cndmask_b32_e64 v0, 0, 0x7e0, vcc_lo
	v_cmp_gt_u16_e32 vcc_lo, 0x60, v2
	s_delay_alu instid0(VALU_DEP_2) | instskip(SKIP_1) | instid1(VALU_DEP_2)
	v_lshlrev_b32_e32 v100, 2, v0
	v_lshlrev_b32_e32 v0, 1, v77
	v_add_nc_u32_e32 v58, v100, v1
	v_lshl_add_u32 v91, v77, 3, v100
	v_lshl_add_u32 v93, v13, 3, v100
	;; [unrolled: 1-line block ×4, first 2 shown]
	v_add_nc_u32_e32 v4, 0x1000, v58
	v_add_nc_u32_e32 v7, 0x200, v58
	;; [unrolled: 1-line block ×8, first 2 shown]
	v_lshl_add_u32 v96, v14, 3, v100
	v_lshl_add_u32 v94, v18, 3, v100
	;; [unrolled: 1-line block ×3, first 2 shown]
	s_waitcnt vmcnt(35)
	v_lshrrev_b32_e32 v88, 16, v84
	s_waitcnt vmcnt(34)
	v_lshrrev_b32_e32 v86, 16, v81
	s_waitcnt vmcnt(33)
	v_lshrrev_b32_e32 v82, 16, v76
	s_waitcnt vmcnt(32)
	v_lshrrev_b32_e32 v78, 16, v72
	s_waitcnt vmcnt(31)
	v_lshrrev_b32_e32 v73, 16, v68
	s_waitcnt vmcnt(30)
	v_lshrrev_b32_e32 v69, 16, v64
	s_waitcnt vmcnt(29)
	v_lshrrev_b32_e32 v65, 16, v60
	s_waitcnt vmcnt(27)
	v_lshrrev_b32_e32 v87, 16, v83
	s_waitcnt vmcnt(26)
	v_lshrrev_b32_e32 v56, 16, v52
	v_lshrrev_b32_e32 v61, 16, v55
	s_waitcnt vmcnt(25)
	v_lshrrev_b32_e32 v1, 16, v19
	v_mul_f16_e32 v36, v88, v19
	s_waitcnt vmcnt(23)
	v_lshrrev_b32_e32 v85, 16, v79
	s_delay_alu instid0(VALU_DEP_3) | instskip(NEXT) | instid1(VALU_DEP_3)
	v_mul_f16_e32 v41, v88, v1
	v_fma_f16 v1, v84, v1, -v36
	s_waitcnt vmcnt(22)
	v_lshrrev_b32_e32 v80, 16, v74
	s_waitcnt vmcnt(21)
	v_lshrrev_b32_e32 v75, 16, v70
	v_lshrrev_b32_e32 v59, 16, v53
	v_fmac_f16_e32 v41, v84, v19
	s_waitcnt vmcnt(20)
	v_lshrrev_b32_e32 v71, 16, v66
	s_waitcnt vmcnt(19)
	v_lshrrev_b32_e32 v67, 16, v62
	;; [unrolled: 2-line block ×4, first 2 shown]
	v_mul_f16_e32 v38, v59, v20
	s_waitcnt vmcnt(15)
	v_lshrrev_b32_e32 v39, 16, v21
	v_mul_f16_e32 v40, v56, v21
	v_pack_b32_f16 v1, v41, v1
	v_mul_f16_e32 v43, v59, v37
	s_waitcnt vmcnt(14)
	v_lshrrev_b32_e32 v36, 16, v22
	v_mul_f16_e32 v42, v87, v22
	v_fma_f16 v37, v53, v37, -v38
	v_mul_f16_e32 v38, v56, v39
	v_fma_f16 v39, v52, v39, -v40
	v_mul_f16_e32 v19, v87, v36
	s_waitcnt vmcnt(13)
	v_lshrrev_b32_e32 v40, 16, v23
	v_fma_f16 v36, v83, v36, -v42
	v_mul_f16_e32 v42, v86, v23
	v_fmac_f16_e32 v43, v53, v20
	v_fmac_f16_e32 v19, v83, v22
	v_mul_f16_e32 v20, v86, v40
	s_waitcnt vmcnt(12)
	v_lshrrev_b32_e32 v22, 16, v24
	v_fmac_f16_e32 v38, v52, v21
	v_fma_f16 v21, v81, v40, -v42
	v_mul_f16_e32 v40, v85, v24
	v_pack_b32_f16 v19, v19, v36
	v_fmac_f16_e32 v20, v81, v23
	v_mul_f16_e32 v23, v85, v22
	s_waitcnt vmcnt(11)
	v_lshrrev_b32_e32 v36, 16, v25
	v_pack_b32_f16 v38, v38, v39
	v_fma_f16 v22, v79, v22, -v40
	v_mul_f16_e32 v39, v82, v25
	ds_store_b32 v58, v19 offset:4032
	v_pack_b32_f16 v19, v20, v21
	v_fmac_f16_e32 v23, v79, v24
	v_mul_f16_e32 v20, v82, v36
	s_waitcnt vmcnt(10)
	v_lshrrev_b32_e32 v24, 16, v26
	v_fma_f16 v21, v76, v36, -v39
	v_mul_f16_e32 v36, v80, v26
	ds_store_2addr_b32 v58, v1, v19 offset1:112
	v_pack_b32_f16 v1, v23, v22
	v_fmac_f16_e32 v20, v76, v25
	v_mul_f16_e32 v19, v80, v24
	s_waitcnt vmcnt(9)
	v_lshrrev_b32_e32 v23, 16, v27
	v_fma_f16 v22, v74, v24, -v36
	v_mul_f16_e32 v24, v78, v27
	v_pack_b32_f16 v20, v20, v21
	v_fmac_f16_e32 v19, v74, v26
	v_mul_f16_e32 v21, v78, v23
	s_waitcnt vmcnt(8)
	v_lshrrev_b32_e32 v25, 16, v28
	v_mul_f16_e32 v26, v75, v28
	v_fma_f16 v23, v72, v23, -v24
	v_pack_b32_f16 v19, v19, v22
	v_fmac_f16_e32 v21, v72, v27
	v_mul_f16_e32 v22, v75, v25
	v_fma_f16 v24, v70, v25, -v26
	s_waitcnt vmcnt(7)
	v_lshrrev_b32_e32 v25, 16, v29
	v_mul_f16_e32 v26, v73, v29
	ds_store_2addr_b32 v4, v1, v19 offset0:96 offset1:208
	v_pack_b32_f16 v1, v21, v23
	v_fmac_f16_e32 v22, v70, v28
	v_mul_f16_e32 v19, v73, v25
	s_waitcnt vmcnt(6)
	v_lshrrev_b32_e32 v23, 16, v30
	v_fma_f16 v21, v68, v25, -v26
	v_mul_f16_e32 v25, v71, v30
	ds_store_2addr_b32 v7, v20, v1 offset0:96 offset1:208
	v_pack_b32_f16 v1, v22, v24
	v_fmac_f16_e32 v19, v68, v29
	v_mul_f16_e32 v20, v71, v23
	s_waitcnt vmcnt(5)
	v_lshrrev_b32_e32 v22, 16, v31
	v_mul_f16_e32 v24, v69, v31
	v_fma_f16 v23, v66, v23, -v25
	v_pack_b32_f16 v19, v19, v21
	v_fmac_f16_e32 v20, v66, v30
	v_mul_f16_e32 v21, v69, v22
	v_fma_f16 v22, v64, v22, -v24
	s_waitcnt vmcnt(4)
	v_lshrrev_b32_e32 v24, 16, v32
	v_mul_f16_e32 v25, v67, v32
	v_pack_b32_f16 v20, v20, v23
	v_fmac_f16_e32 v21, v64, v31
	s_waitcnt vmcnt(3)
	v_lshrrev_b32_e32 v23, 16, v33
	v_mul_f16_e32 v26, v67, v24
	v_fma_f16 v24, v62, v24, -v25
	v_mul_f16_e32 v25, v65, v33
	v_pack_b32_f16 v21, v21, v22
	v_mul_f16_e32 v22, v65, v23
	v_lshrrev_b32_e32 v54, 16, v51
	v_fmac_f16_e32 v26, v62, v32
	v_fma_f16 v23, v60, v23, -v25
	v_pack_b32_f16 v37, v43, v37
	v_fmac_f16_e32 v22, v60, v33
	s_waitcnt vmcnt(2)
	v_lshrrev_b32_e32 v27, 16, v34
	v_mul_f16_e32 v25, v63, v34
	s_waitcnt vmcnt(1)
	v_lshrrev_b32_e32 v28, 16, v15
	s_waitcnt vmcnt(0)
	v_lshrrev_b32_e32 v30, 16, v35
	v_mul_f16_e32 v32, v54, v35
	v_mul_f16_e32 v29, v63, v27
	v_fma_f16 v25, v57, v27, -v25
	v_mul_f16_e32 v27, v61, v15
	v_mul_f16_e32 v31, v61, v28
	v_mul_f16_e32 v33, v54, v30
	v_fmac_f16_e32 v29, v57, v34
	v_pack_b32_f16 v24, v26, v24
	v_fma_f16 v27, v55, v28, -v27
	v_fmac_f16_e32 v31, v55, v15
	v_fma_f16 v15, v51, v30, -v32
	v_fmac_f16_e32 v33, v51, v35
	v_pack_b32_f16 v22, v22, v23
	v_pack_b32_f16 v23, v29, v25
	;; [unrolled: 1-line block ×3, first 2 shown]
	ds_store_b32 v58, v38 offset:3584
	v_pack_b32_f16 v15, v33, v15
	ds_store_2addr_b32 v10, v1, v20 offset0:64 offset1:176
	ds_store_2addr_b32 v6, v19, v21 offset0:64 offset1:176
	;; [unrolled: 1-line block ×4, first 2 shown]
	ds_store_2addr_b32 v8, v37, v15 offset1:112
	s_waitcnt lgkmcnt(0)
	s_barrier
	buffer_gl0_inv
	ds_load_2addr_b32 v[19:20], v58 offset1:112
	ds_load_2addr_b32 v[21:22], v5 offset0:128 offset1:240
	ds_load_2addr_b32 v[23:24], v4 offset0:96 offset1:208
	;; [unrolled: 1-line block ×7, first 2 shown]
	ds_load_2addr_b32 v[35:36], v8 offset1:112
	v_add_nc_u32_e32 v1, 0x540, v0
	v_add_nc_u32_e32 v15, 0x620, v0
	s_waitcnt lgkmcnt(0)
	s_barrier
	buffer_gl0_inv
	v_lshl_add_u32 v99, v1, 2, v100
	v_lshl_add_u32 v98, v15, 2, v100
	v_pk_add_f16 v37, v19, v22 neg_lo:[0,1] neg_hi:[0,1]
	v_pk_add_f16 v23, v20, v23 neg_lo:[0,1] neg_hi:[0,1]
	;; [unrolled: 1-line block ×9, first 2 shown]
	v_pk_fma_f16 v36, v19, 2.0, v37 op_sel_hi:[1,0,1] neg_lo:[0,0,1] neg_hi:[0,0,1]
	v_pk_fma_f16 v22, v20, 2.0, v23 op_sel_hi:[1,0,1] neg_lo:[0,0,1] neg_hi:[0,0,1]
	;; [unrolled: 1-line block ×9, first 2 shown]
	ds_store_b64 v91, v[36:37]
	ds_store_b64 v93, v[22:23]
	;; [unrolled: 1-line block ×9, first 2 shown]
	s_waitcnt lgkmcnt(0)
	s_barrier
	buffer_gl0_inv
	global_load_b32 v90, v46, s[10:11]
	v_lshlrev_b32_e32 v20, 1, v13
	v_lshlrev_b32_e32 v21, 1, v3
	;; [unrolled: 1-line block ×4, first 2 shown]
	v_and_or_b32 v25, 0xfc, v0, v16
	v_and_or_b32 v31, 0x1fc, v20, v16
	;; [unrolled: 1-line block ×6, first 2 shown]
	v_lshl_add_u32 v163, v25, 2, v100
	ds_load_2addr_b32 v[25:26], v5 offset0:128 offset1:240
	ds_load_2addr_b32 v[27:28], v58 offset1:112
	ds_load_2addr_b32 v[29:30], v4 offset0:96 offset1:208
	v_lshl_add_u32 v162, v31, 2, v100
	v_lshl_add_u32 v161, v32, 2, v100
	ds_load_2addr_b32 v[31:32], v7 offset0:96 offset1:208
	ds_load_2addr_b32 v[33:34], v10 offset0:64 offset1:176
	v_lshlrev_b32_e32 v24, 1, v18
	v_lshl_add_u32 v159, v35, 2, v100
	v_lshl_add_u32 v155, v36, 2, v100
	ds_load_2addr_b32 v[35:36], v6 offset0:64 offset1:176
	ds_load_2addr_b32 v[37:38], v9 offset0:32 offset1:144
	v_lshl_add_u32 v137, v41, 2, v100
	ds_load_2addr_b32 v[41:42], v8 offset1:112
	v_lshlrev_b32_e32 v19, 1, v49
	v_and_or_b32 v39, 0x5fc, v24, v16
	v_and_or_b32 v40, 0x7fc, v1, v16
	v_and_b32_e32 v43, 3, v77
	s_delay_alu instid0(VALU_DEP_4) | instskip(NEXT) | instid1(VALU_DEP_4)
	v_and_or_b32 v16, 0x7fc, v19, v16
	v_lshl_add_u32 v150, v39, 2, v100
	s_delay_alu instid0(VALU_DEP_4)
	v_lshl_add_u32 v141, v40, 2, v100
	ds_load_2addr_b32 v[39:40], v11 offset0:32 offset1:144
	s_waitcnt lgkmcnt(7)
	v_lshrrev_b32_e32 v45, 16, v27
	v_lshl_add_u32 v133, v16, 2, v100
	v_lshrrev_b32_e32 v16, 16, v26
	s_waitcnt lgkmcnt(6)
	v_lshrrev_b32_e32 v46, 16, v29
	v_lshrrev_b32_e32 v48, 16, v30
	s_waitcnt lgkmcnt(4)
	v_lshrrev_b32_e32 v102, 16, v33
	v_lshrrev_b32_e32 v104, 16, v34
	;; [unrolled: 1-line block ×3, first 2 shown]
	s_waitcnt lgkmcnt(2)
	v_lshrrev_b32_e32 v106, 16, v37
	v_lshrrev_b32_e32 v108, 16, v38
	s_waitcnt lgkmcnt(1)
	v_lshrrev_b32_e32 v110, 16, v41
	v_lshrrev_b32_e32 v112, 16, v42
	;; [unrolled: 1-line block ×7, first 2 shown]
	v_lshlrev_b32_e32 v44, 2, v43
	s_waitcnt vmcnt(0) lgkmcnt(0)
	v_lshrrev_b32_e32 v109, 16, v39
	v_lshrrev_b32_e32 v111, 16, v40
	s_barrier
	buffer_gl0_inv
	v_lshrrev_b32_e32 v149, 16, v90
	s_delay_alu instid0(VALU_DEP_1)
	v_mul_f16_e64 v114, v16, v149
	v_mul_f16_e64 v115, v26, v149
	;; [unrolled: 1-line block ×18, first 2 shown]
	v_fma_f16 v26, v26, v90, -v114
	v_fmac_f16_e32 v115, v16, v90
	v_fmac_f16_e32 v116, v46, v90
	v_fma_f16 v16, v29, v90, -v117
	v_fma_f16 v29, v30, v90, -v118
	v_fmac_f16_e32 v119, v48, v90
	v_fmac_f16_e32 v120, v102, v90
	v_fma_f16 v30, v33, v90, -v121
	;; [unrolled: 4-line block ×3, first 2 shown]
	v_fma_f16 v37, v38, v90, -v126
	v_fmac_f16_e32 v127, v108, v90
	v_fmac_f16_e64 v128, v110, v90
	v_fma_f16 v38, v41, v90, -v129
	v_fma_f16 v41, v42, v90, -v130
	v_fmac_f16_e64 v131, v112, v90
	v_sub_f16_e32 v26, v27, v26
	v_sub_f16_e32 v42, v45, v115
	;; [unrolled: 1-line block ×15, first 2 shown]
	v_sub_f16_e64 v110, v111, v128
	v_sub_f16_e32 v41, v25, v41
	v_sub_f16_e64 v112, v113, v131
	v_fma_f16 v27, v27, 2.0, -v26
	v_fma_f16 v45, v45, 2.0, -v42
	v_pack_b32_f16 v26, v26, v42
	v_fma_f16 v28, v28, 2.0, -v16
	v_fma_f16 v42, v47, 2.0, -v46
	v_pack_b32_f16 v16, v16, v46
	v_fma_f16 v46, v101, 2.0, -v48
	v_pack_b32_f16 v47, v29, v48
	v_fma_f16 v29, v31, 2.0, -v29
	v_fma_f16 v31, v32, 2.0, -v30
	;; [unrolled: 1-line block ×4, first 2 shown]
	v_pack_b32_f16 v101, v33, v104
	v_fma_f16 v33, v35, 2.0, -v33
	v_pack_b32_f16 v30, v30, v102
	v_fma_f16 v35, v36, 2.0, -v34
	v_fma_f16 v36, v107, 2.0, -v106
	;; [unrolled: 1-line block ×3, first 2 shown]
	v_pack_b32_f16 v103, v37, v108
	v_fma_f16 v37, v39, 2.0, -v37
	v_fma_f16 v39, v40, 2.0, -v38
	;; [unrolled: 1-line block ×5, first 2 shown]
	v_pack_b32_f16 v27, v27, v45
	v_pack_b32_f16 v28, v28, v42
	;; [unrolled: 1-line block ×12, first 2 shown]
	ds_store_2addr_b32 v163, v27, v26 offset1:2
	ds_store_2addr_b32 v162, v28, v16 offset1:2
	;; [unrolled: 1-line block ×9, first 2 shown]
	s_waitcnt lgkmcnt(0)
	s_barrier
	buffer_gl0_inv
	global_load_b32 v103, v44, s[10:11] offset:8
	v_and_or_b32 v25, 0xf8, v0, v43
	v_and_or_b32 v31, 0x1f8, v20, v43
	;; [unrolled: 1-line block ×6, first 2 shown]
	v_lshl_add_u32 v145, v25, 2, v100
	ds_load_2addr_b32 v[25:26], v5 offset0:128 offset1:240
	ds_load_2addr_b32 v[27:28], v58 offset1:112
	ds_load_2addr_b32 v[29:30], v4 offset0:96 offset1:208
	v_lshl_add_u32 v144, v31, 2, v100
	v_lshl_add_u32 v139, v32, 2, v100
	ds_load_2addr_b32 v[31:32], v7 offset0:96 offset1:208
	ds_load_2addr_b32 v[33:34], v10 offset0:64 offset1:176
	v_lshl_add_u32 v136, v35, 2, v100
	v_lshl_add_u32 v130, v36, 2, v100
	ds_load_2addr_b32 v[35:36], v6 offset0:64 offset1:176
	ds_load_2addr_b32 v[37:38], v9 offset0:32 offset1:144
	v_lshl_add_u32 v116, v41, 2, v100
	ds_load_2addr_b32 v[41:42], v8 offset1:112
	v_and_or_b32 v39, 0x5f8, v24, v43
	v_and_or_b32 v40, 0x7f8, v1, v43
	;; [unrolled: 1-line block ×3, first 2 shown]
	v_and_b32_e32 v16, 7, v77
	s_delay_alu instid0(VALU_DEP_4) | instskip(NEXT) | instid1(VALU_DEP_4)
	v_lshl_add_u32 v127, v39, 2, v100
	v_lshl_add_u32 v121, v40, 2, v100
	ds_load_2addr_b32 v[39:40], v11 offset0:32 offset1:144
	v_lshl_add_u32 v114, v43, 2, v100
	s_waitcnt lgkmcnt(8)
	v_lshrrev_b32_e32 v43, 16, v26
	s_waitcnt lgkmcnt(7)
	v_lshrrev_b32_e32 v45, 16, v27
	;; [unrolled: 2-line block ×3, first 2 shown]
	v_lshrrev_b32_e32 v48, 16, v30
	v_lshrrev_b32_e32 v47, 16, v28
	s_waitcnt lgkmcnt(4)
	v_lshrrev_b32_e32 v102, 16, v33
	v_lshrrev_b32_e32 v105, 16, v34
	;; [unrolled: 1-line block ×3, first 2 shown]
	s_waitcnt lgkmcnt(2)
	v_lshrrev_b32_e32 v107, 16, v37
	v_lshrrev_b32_e32 v109, 16, v38
	s_waitcnt lgkmcnt(1)
	v_lshrrev_b32_e32 v111, 16, v41
	v_lshrrev_b32_e32 v113, 16, v42
	;; [unrolled: 1-line block ×6, first 2 shown]
	v_lshlrev_b32_e32 v44, 2, v16
	s_waitcnt vmcnt(0) lgkmcnt(0)
	v_lshrrev_b32_e32 v110, 16, v39
	v_lshrrev_b32_e32 v112, 16, v40
	s_barrier
	buffer_gl0_inv
	v_lshrrev_b32_e32 v124, 16, v103
	s_delay_alu instid0(VALU_DEP_1)
	v_mul_f16_e32 v117, v26, v124
	v_mul_f16_e32 v118, v43, v124
	;; [unrolled: 1-line block ×8, first 2 shown]
	v_mul_f16_e64 v128, v105, v124
	v_mul_f16_e64 v129, v34, v124
	v_mul_f16_e64 v131, v37, v124
	v_mul_f16_e64 v132, v107, v124
	v_mul_f16_e64 v134, v109, v124
	v_mul_f16_e64 v135, v38, v124
	v_mul_f16_e64 v138, v41, v124
	v_mul_f16_e64 v140, v111, v124
	v_mul_f16_e64 v142, v113, v124
	v_mul_f16_e64 v143, v42, v124
	v_fmac_f16_e32 v117, v43, v103
	v_fma_f16 v26, v26, v103, -v118
	v_fmac_f16_e32 v119, v46, v103
	v_fma_f16 v29, v29, v103, -v120
	v_fma_f16 v30, v30, v103, -v122
	v_fmac_f16_e32 v123, v48, v103
	v_fmac_f16_e32 v125, v102, v103
	v_fma_f16 v33, v33, v103, -v126
	v_fma_f16 v34, v34, v103, -v128
	v_fmac_f16_e64 v129, v105, v103
	v_fmac_f16_e64 v131, v107, v103
	v_fma_f16 v37, v37, v103, -v132
	v_fma_f16 v38, v38, v103, -v134
	v_fmac_f16_e64 v135, v109, v103
	v_fmac_f16_e64 v138, v111, v103
	v_fma_f16 v41, v41, v103, -v140
	v_fma_f16 v42, v42, v103, -v142
	v_fmac_f16_e64 v143, v113, v103
	v_sub_f16_e32 v43, v45, v117
	v_sub_f16_e32 v26, v27, v26
	;; [unrolled: 1-line block ×8, first 2 shown]
	v_sub_f16_e64 v105, v106, v129
	v_sub_f16_e32 v34, v35, v34
	v_sub_f16_e32 v37, v36, v37
	v_sub_f16_e64 v107, v108, v131
	v_sub_f16_e64 v109, v110, v135
	v_sub_f16_e32 v38, v39, v38
	v_sub_f16_e32 v41, v40, v41
	v_sub_f16_e64 v111, v112, v138
	v_sub_f16_e32 v42, v25, v42
	v_sub_f16_e64 v113, v115, v143
	v_fma_f16 v45, v45, 2.0, -v43
	v_pack_b32_f16 v43, v26, v43
	v_fma_f16 v26, v27, 2.0, -v26
	v_fma_f16 v27, v28, 2.0, -v29
	;; [unrolled: 1-line block ×3, first 2 shown]
	v_pack_b32_f16 v29, v29, v46
	v_fma_f16 v46, v101, 2.0, -v48
	v_pack_b32_f16 v47, v30, v48
	v_fma_f16 v30, v31, 2.0, -v30
	v_fma_f16 v31, v32, 2.0, -v33
	;; [unrolled: 1-line block ×4, first 2 shown]
	v_pack_b32_f16 v101, v34, v105
	v_fma_f16 v34, v35, 2.0, -v34
	v_pack_b32_f16 v33, v33, v102
	v_fma_f16 v35, v36, 2.0, -v37
	v_fma_f16 v36, v108, 2.0, -v107
	;; [unrolled: 1-line block ×3, first 2 shown]
	v_pack_b32_f16 v104, v38, v109
	v_fma_f16 v38, v39, 2.0, -v38
	v_fma_f16 v39, v40, 2.0, -v41
	;; [unrolled: 1-line block ×5, first 2 shown]
	v_pack_b32_f16 v26, v26, v45
	v_pack_b32_f16 v27, v27, v28
	;; [unrolled: 1-line block ×12, first 2 shown]
	ds_store_2addr_b32 v145, v26, v43 offset1:4
	ds_store_2addr_b32 v144, v27, v29 offset1:4
	ds_store_2addr_b32 v139, v28, v47 offset1:4
	ds_store_2addr_b32 v136, v30, v33 offset1:4
	ds_store_2addr_b32 v130, v31, v101 offset1:4
	ds_store_2addr_b32 v127, v32, v37 offset1:4
	ds_store_2addr_b32 v121, v34, v104 offset1:4
	ds_store_2addr_b32 v116, v35, v41 offset1:4
	ds_store_2addr_b32 v114, v25, v42 offset1:4
	s_waitcnt lgkmcnt(0)
	s_barrier
	buffer_gl0_inv
	global_load_b32 v102, v44, s[10:11] offset:24
	v_and_or_b32 v25, 0xf0, v0, v16
	v_and_or_b32 v31, 0x1f0, v20, v16
	;; [unrolled: 1-line block ×6, first 2 shown]
	v_lshl_add_u32 v152, v25, 2, v100
	ds_load_2addr_b32 v[25:26], v5 offset0:128 offset1:240
	ds_load_2addr_b32 v[27:28], v58 offset1:112
	ds_load_2addr_b32 v[29:30], v4 offset0:96 offset1:208
	v_lshl_add_u32 v151, v31, 2, v100
	v_lshl_add_u32 v142, v32, 2, v100
	ds_load_2addr_b32 v[31:32], v7 offset0:96 offset1:208
	ds_load_2addr_b32 v[33:34], v10 offset0:64 offset1:176
	v_lshl_add_u32 v138, v35, 2, v100
	v_lshl_add_u32 v129, v36, 2, v100
	ds_load_2addr_b32 v[35:36], v6 offset0:64 offset1:176
	ds_load_2addr_b32 v[37:38], v9 offset0:32 offset1:144
	v_lshl_add_u32 v115, v41, 2, v100
	ds_load_2addr_b32 v[41:42], v8 offset1:112
	v_and_or_b32 v39, 0x5f0, v24, v16
	v_and_or_b32 v40, 0x7f0, v1, v16
	;; [unrolled: 1-line block ×3, first 2 shown]
	v_and_b32_e32 v43, 15, v77
	s_delay_alu instid0(VALU_DEP_4) | instskip(NEXT) | instid1(VALU_DEP_4)
	v_lshl_add_u32 v125, v39, 2, v100
	v_lshl_add_u32 v120, v40, 2, v100
	ds_load_2addr_b32 v[39:40], v11 offset0:32 offset1:144
	v_lshl_add_u32 v113, v16, 2, v100
	s_waitcnt lgkmcnt(8)
	v_lshrrev_b32_e32 v16, 16, v26
	s_waitcnt lgkmcnt(7)
	v_lshrrev_b32_e32 v45, 16, v27
	;; [unrolled: 2-line block ×3, first 2 shown]
	v_lshrrev_b32_e32 v48, 16, v30
	v_lshrrev_b32_e32 v47, 16, v28
	s_waitcnt lgkmcnt(4)
	v_lshrrev_b32_e32 v104, 16, v33
	v_lshrrev_b32_e32 v106, 16, v34
	;; [unrolled: 1-line block ×3, first 2 shown]
	s_waitcnt lgkmcnt(2)
	v_lshrrev_b32_e32 v108, 16, v37
	v_lshrrev_b32_e32 v110, 16, v38
	s_waitcnt lgkmcnt(1)
	v_lshrrev_b32_e32 v112, 16, v41
	v_lshrrev_b32_e32 v118, 16, v42
	;; [unrolled: 1-line block ×6, first 2 shown]
	v_lshlrev_b32_e32 v44, 2, v43
	s_waitcnt vmcnt(0) lgkmcnt(0)
	v_lshrrev_b32_e32 v111, 16, v39
	v_lshrrev_b32_e32 v117, 16, v40
	s_barrier
	buffer_gl0_inv
	v_and_or_b32 v0, 0xe0, v0, v43
	v_and_or_b32 v21, 0x3e0, v21, v43
	v_lshrrev_b32_e32 v123, 16, v102
	s_delay_alu instid0(VALU_DEP_1)
	v_mul_f16_e32 v122, v26, v123
	v_mul_f16_e32 v126, v16, v123
	v_mul_f16_e64 v128, v29, v123
	v_mul_f16_e64 v131, v46, v123
	;; [unrolled: 1-line block ×16, first 2 shown]
	v_fmac_f16_e32 v122, v16, v102
	v_fma_f16 v16, v26, v102, -v126
	v_fmac_f16_e64 v128, v46, v102
	v_fma_f16 v26, v29, v102, -v131
	v_fma_f16 v29, v30, v102, -v132
	v_fmac_f16_e64 v134, v48, v102
	v_fmac_f16_e64 v135, v104, v102
	v_fma_f16 v30, v33, v102, -v140
	v_fma_f16 v33, v34, v102, -v143
	v_fmac_f16_e64 v146, v106, v102
	;; [unrolled: 4-line block ×4, first 2 shown]
	v_sub_f16_e32 v42, v45, v122
	v_sub_f16_e32 v16, v27, v16
	;; [unrolled: 1-line block ×3, first 2 shown]
	v_sub_f16_e64 v46, v47, v128
	v_sub_f16_e64 v48, v101, v134
	v_sub_f16_e32 v29, v31, v29
	v_sub_f16_e32 v30, v32, v30
	v_sub_f16_e64 v104, v105, v135
	v_sub_f16_e64 v106, v107, v146
	v_sub_f16_e32 v33, v35, v33
	v_sub_f16_e32 v34, v36, v34
	;; [unrolled: 4-line block ×3, first 2 shown]
	v_sub_f16_e64 v112, v117, v156
	v_sub_f16_e32 v41, v25, v41
	v_sub_f16_e64 v118, v119, v160
	v_fma_f16 v45, v45, 2.0, -v42
	v_pack_b32_f16 v42, v16, v42
	v_fma_f16 v16, v27, 2.0, -v16
	v_fma_f16 v27, v28, 2.0, -v26
	v_fma_f16 v28, v47, 2.0, -v46
	v_pack_b32_f16 v26, v26, v46
	v_fma_f16 v46, v101, 2.0, -v48
	v_pack_b32_f16 v47, v29, v48
	v_fma_f16 v29, v31, 2.0, -v29
	v_fma_f16 v31, v32, 2.0, -v30
	;; [unrolled: 1-line block ×4, first 2 shown]
	v_pack_b32_f16 v101, v33, v106
	v_fma_f16 v33, v35, 2.0, -v33
	v_pack_b32_f16 v30, v30, v104
	v_fma_f16 v35, v36, 2.0, -v34
	v_fma_f16 v36, v109, 2.0, -v108
	;; [unrolled: 1-line block ×3, first 2 shown]
	v_pack_b32_f16 v105, v37, v110
	v_fma_f16 v37, v39, 2.0, -v37
	v_fma_f16 v39, v40, 2.0, -v38
	;; [unrolled: 1-line block ×5, first 2 shown]
	v_pack_b32_f16 v16, v16, v45
	v_pack_b32_f16 v27, v27, v28
	;; [unrolled: 1-line block ×12, first 2 shown]
	ds_store_2addr_b32 v152, v16, v42 offset1:8
	ds_store_2addr_b32 v151, v27, v26 offset1:8
	;; [unrolled: 1-line block ×9, first 2 shown]
	s_waitcnt lgkmcnt(0)
	s_barrier
	buffer_gl0_inv
	global_load_b32 v101, v44, s[10:11] offset:56
	v_and_or_b32 v27, 0x1e0, v20, v43
	v_and_or_b32 v28, 0x3e0, v22, v43
	;; [unrolled: 1-line block ×4, first 2 shown]
	v_lshl_add_u32 v156, v0, 2, v100
	v_and_or_b32 v32, 0x7e0, v1, v43
	v_and_or_b32 v37, 0x7e0, v19, v43
	ds_load_2addr_b32 v[0:1], v5 offset0:128 offset1:240
	ds_load_2addr_b32 v[15:16], v58 offset1:112
	ds_load_2addr_b32 v[19:20], v4 offset0:96 offset1:208
	v_and_or_b32 v31, 0x5e0, v24, v43
	v_lshl_add_u32 v153, v21, 2, v100
	ds_load_2addr_b32 v[21:22], v7 offset0:96 offset1:208
	ds_load_2addr_b32 v[23:24], v10 offset0:64 offset1:176
	v_lshl_add_u32 v158, v27, 2, v100
	v_lshl_add_u32 v146, v28, 2, v100
	;; [unrolled: 1-line block ×3, first 2 shown]
	ds_load_2addr_b32 v[27:28], v6 offset0:64 offset1:176
	ds_load_2addr_b32 v[29:30], v9 offset0:32 offset1:144
	v_lshl_add_u32 v122, v33, 2, v100
	ds_load_2addr_b32 v[33:34], v8 offset1:112
	v_lshl_add_u32 v131, v31, 2, v100
	v_lshl_add_u32 v126, v32, 2, v100
	ds_load_2addr_b32 v[31:32], v11 offset0:32 offset1:144
	v_lshl_add_u32 v117, v37, 2, v100
	v_and_b32_e32 v26, 31, v18
	v_and_b32_e32 v35, 31, v17
	;; [unrolled: 1-line block ×3, first 2 shown]
	s_waitcnt vmcnt(0) lgkmcnt(0)
	v_lshrrev_b32_e32 v37, 16, v1
	v_lshrrev_b32_e32 v40, 16, v15
	;; [unrolled: 1-line block ×18, first 2 shown]
	v_lshlrev_b32_e32 v38, 3, v26
	s_barrier
	buffer_gl0_inv
	v_lshlrev_b32_e32 v39, 3, v35
	v_lshlrev_b32_e32 v36, 3, v25
	v_lshrrev_b32_e32 v128, 16, v101
	s_delay_alu instid0(VALU_DEP_1)
	v_mul_f16_e64 v112, v1, v128
	v_mul_f16_e64 v118, v37, v128
	;; [unrolled: 1-line block ×18, first 2 shown]
	v_fmac_f16_e32 v112, v37, v101
	v_fma_f16 v1, v1, v101, -v118
	v_fmac_f16_e32 v119, v41, v101
	v_fma_f16 v19, v19, v101, -v132
	v_fma_f16 v20, v20, v101, -v134
	v_fmac_f16_e64 v140, v43, v101
	v_fmac_f16_e64 v143, v45, v101
	v_fma_f16 v23, v23, v101, -v147
	v_fma_f16 v24, v24, v101, -v148
	v_fmac_f16_e64 v154, v47, v101
	v_fmac_f16_e64 v157, v104, v101
	;; [unrolled: 4-line block ×3, first 2 shown]
	v_fma_f16 v33, v33, v101, -v167
	v_fma_f16 v34, v34, v101, -v168
	v_fmac_f16_e64 v169, v110, v101
	v_sub_f16_e32 v37, v40, v112
	v_sub_f16_e32 v1, v15, v1
	;; [unrolled: 1-line block ×4, first 2 shown]
	v_sub_f16_e64 v43, v44, v140
	v_sub_f16_e32 v20, v21, v20
	v_sub_f16_e32 v23, v22, v23
	v_sub_f16_e64 v45, v46, v143
	v_sub_f16_e64 v47, v48, v154
	v_sub_f16_e32 v24, v27, v24
	v_sub_f16_e32 v29, v28, v29
	v_sub_f16_e64 v104, v105, v157
	;; [unrolled: 4-line block ×3, first 2 shown]
	v_sub_f16_e32 v34, v0, v34
	v_sub_f16_e64 v110, v111, v169
	v_fma_f16 v40, v40, 2.0, -v37
	v_pack_b32_f16 v37, v1, v37
	v_fma_f16 v1, v15, 2.0, -v1
	v_fma_f16 v15, v16, 2.0, -v19
	;; [unrolled: 1-line block ×3, first 2 shown]
	v_pack_b32_f16 v19, v19, v41
	v_fma_f16 v41, v44, 2.0, -v43
	v_pack_b32_f16 v42, v20, v43
	v_fma_f16 v20, v21, 2.0, -v20
	v_fma_f16 v21, v22, 2.0, -v23
	v_fma_f16 v22, v46, 2.0, -v45
	v_fma_f16 v43, v48, 2.0, -v47
	v_pack_b32_f16 v44, v24, v47
	v_fma_f16 v24, v27, 2.0, -v24
	v_pack_b32_f16 v23, v23, v45
	v_fma_f16 v27, v28, 2.0, -v29
	v_fma_f16 v28, v105, 2.0, -v104
	;; [unrolled: 1-line block ×3, first 2 shown]
	v_pack_b32_f16 v46, v30, v106
	v_fma_f16 v30, v31, 2.0, -v30
	v_fma_f16 v31, v32, 2.0, -v33
	;; [unrolled: 1-line block ×5, first 2 shown]
	v_pack_b32_f16 v1, v1, v40
	v_pack_b32_f16 v15, v15, v16
	;; [unrolled: 1-line block ×12, first 2 shown]
	ds_store_2addr_b32 v156, v1, v37 offset1:16
	ds_store_2addr_b32 v158, v15, v19 offset1:16
	;; [unrolled: 1-line block ×9, first 2 shown]
	v_and_b32_e32 v21, 31, v13
	s_waitcnt lgkmcnt(0)
	s_barrier
	buffer_gl0_inv
	s_clause 0x8
	global_load_b32 v109, v38, s[10:11] offset:120
	global_load_b32 v112, v38, s[10:11] offset:122
	;; [unrolled: 1-line block ×3, first 2 shown]
	global_load_u16 v108, v38, s[10:11] offset:126
	global_load_u16 v147, v39, s[10:11] offset:120
	global_load_b64 v[15:16], v36, s[10:11] offset:120
	global_load_u16 v154, v39, s[10:11] offset:122
	global_load_u16 v143, v39, s[10:11] offset:126
	;; [unrolled: 1-line block ×3, first 2 shown]
	v_lshlrev_b32_e32 v0, 3, v21
	v_lshrrev_b32_e32 v19, 5, v77
	v_lshrrev_b32_e32 v23, 5, v13
	;; [unrolled: 1-line block ×4, first 2 shown]
	global_load_u16 v164, v0, s[10:11] offset:120
	v_add_co_u32 v0, s2, 0xffffffa0, v77
	s_delay_alu instid0(VALU_DEP_1) | instskip(SKIP_1) | instid1(VALU_DEP_3)
	v_add_co_ci_u32_e64 v1, null, 0, -1, s2
	v_mul_u32_u24_e32 v22, 0x60, v19
	v_cndmask_b32_e32 v0, v0, v77, vcc_lo
	v_lshrrev_b32_e32 v28, 5, v14
	s_delay_alu instid0(VALU_DEP_4)
	v_cndmask_b32_e64 v1, v1, 0, vcc_lo
	v_lshrrev_b32_e32 v29, 5, v18
	v_and_b32_e32 v30, 0xff, v13
	v_and_b32_e32 v31, 0xffff, v17
	;; [unrolled: 1-line block ×5, first 2 shown]
	v_lshlrev_b64 v[19:20], 3, v[0:1]
	v_or_b32_e32 v1, v22, v25
	v_mul_u32_u24_e32 v22, 0x60, v23
	v_mul_u32_u24_e32 v23, 0x60, v24
	;; [unrolled: 1-line block ×5, first 2 shown]
	v_mul_lo_u16 v29, 0xab, v30
	v_mul_u32_u24_e32 v30, 0xaaab, v31
	v_mul_u32_u24_e32 v31, 0xaaab, v32
	;; [unrolled: 1-line block ×4, first 2 shown]
	v_lshl_add_u32 v160, v1, 2, v100
	v_or_b32_e32 v1, v22, v21
	v_or_b32_e32 v21, v23, v25
	;; [unrolled: 1-line block ×4, first 2 shown]
	v_lshrrev_b32_e32 v42, 22, v30
	v_lshrrev_b32_e32 v45, 22, v33
	v_lshl_add_u32 v148, v21, 2, v100
	v_or_b32_e32 v23, v27, v25
	v_lshl_add_u32 v118, v24, 2, v100
	v_mul_lo_u16 v21, 0x60, v42
	v_mul_lo_u16 v24, 0x60, v45
	v_lshrrev_b16 v41, 14, v29
	v_lshrrev_b32_e32 v44, 22, v32
	v_lshl_add_u32 v132, v22, 2, v100
	v_sub_nc_u16 v46, v17, v21
	v_sub_nc_u16 v48, v18, v24
	v_lshl_add_u32 v119, v23, 2, v100
	v_mul_lo_u16 v22, 0x60, v41
	v_mul_lo_u16 v23, 0x60, v44
	v_lshlrev_b16 v17, 3, v46
	v_lshlrev_b16 v18, 3, v48
	v_lshrrev_b32_e32 v43, 22, v31
	v_sub_nc_u16 v13, v13, v22
	v_sub_nc_u16 v47, v14, v23
	v_and_b32_e32 v27, 0xffff, v17
	v_and_b32_e32 v106, 0xffff, v18
	ds_load_2addr_b32 v[17:18], v11 offset0:32 offset1:144
	ds_load_2addr_b32 v[21:22], v10 offset0:64 offset1:176
	ds_load_2addr_b32 v[23:24], v58 offset1:112
	ds_load_2addr_b32 v[25:26], v5 offset0:128 offset1:240
	ds_load_2addr_b32 v[29:30], v9 offset0:32 offset1:144
	ds_load_2addr_b32 v[31:32], v7 offset0:96 offset1:208
	ds_load_2addr_b32 v[33:34], v4 offset0:96 offset1:208
	ds_load_2addr_b32 v[35:36], v8 offset1:112
	ds_load_2addr_b32 v[39:40], v6 offset0:64 offset1:176
	v_lshl_add_u32 v157, v1, 2, v100
	v_mul_lo_u16 v1, 0x60, v43
	v_and_b32_e32 v104, 0xff, v13
	v_lshlrev_b16 v13, 3, v47
	v_add_co_u32 v19, vcc_lo, s10, v19
	s_delay_alu instid0(VALU_DEP_4) | instskip(SKIP_1) | instid1(VALU_DEP_4)
	v_sub_nc_u16 v1, v3, v1
	v_add_co_ci_u32_e32 v20, vcc_lo, s11, v20, vcc_lo
	v_and_b32_e32 v37, 0xffff, v13
	v_lshlrev_b32_e32 v105, 3, v104
	s_delay_alu instid0(VALU_DEP_4)
	v_lshlrev_b16 v14, 3, v1
	s_waitcnt vmcnt(0) lgkmcnt(0)
	s_barrier
	v_lshrrev_b32_e32 v110, 16, v17
	v_lshrrev_b32_e32 v170, 16, v30
	;; [unrolled: 1-line block ×18, first 2 shown]
	v_and_b32_e32 v14, 0xffff, v14
	buffer_gl0_inv
	v_cmp_lt_u16_e32 vcc_lo, 0x5f, v2
	v_mad_u16 v1, 0x120, v43, v1
	v_add_co_u32 v13, s2, s10, v14
	s_delay_alu instid0(VALU_DEP_1) | instskip(SKIP_1) | instid1(VALU_DEP_1)
	v_add_co_ci_u32_e64 v14, null, s11, 0, s2
	v_add_co_u32 v27, s2, s10, v27
	v_add_co_ci_u32_e64 v28, null, s11, 0, s2
	v_add_co_u32 v37, s2, s10, v37
	s_delay_alu instid0(VALU_DEP_1)
	v_add_co_ci_u32_e64 v38, null, s11, 0, s2
	v_lshrrev_b32_e32 v189, 16, v109
	v_mul_f16_e64 v188, v176, v112
	v_lshrrev_b32_e32 v185, 16, v107
	v_mul_f16_e64 v190, v34, v112
	v_mul_f16_e64 v191, v178, v108
	v_lshrrev_b32_e32 v174, 16, v15
	v_lshrrev_b32_e32 v171, 16, v16
	v_mul_f16_e64 v183, v168, v154
	v_mul_f16_e64 v184, v26, v154
	;; [unrolled: 1-line block ×5, first 2 shown]
	v_lshrrev_b32_e32 v182, 16, v112
	v_mul_f16_e64 v193, v110, v174
	v_mul_f16_e64 v194, v111, v189
	;; [unrolled: 1-line block ×8, first 2 shown]
	v_fma_f16 v26, v26, v147, -v183
	v_mul_f16_e64 v183, v169, v174
	v_mul_f16_e64 v201, v25, v174
	v_fma_f16 v30, v30, v140, -v186
	v_mul_f16_e64 v186, v172, v171
	v_mul_f16_e64 v202, v29, v171
	v_fmac_f16_e64 v184, v168, v147
	v_fmac_f16_e64 v187, v170, v140
	v_fma_f16 v34, v34, v109, -v188
	v_mul_f16_e64 v168, v177, v174
	v_mul_f16_e64 v170, v33, v174
	v_fma_f16 v36, v36, v107, -v191
	v_mul_f16_e64 v188, v179, v171
	v_mul_f16_e64 v191, v35, v171
	v_fmac_f16_e64 v190, v176, v109
	v_fmac_f16_e64 v192, v178, v107
	v_fma_f16 v17, v17, v15, -v193
	v_fma_f16 v18, v18, v164, -v194
	;; [unrolled: 1-line block ×4, first 2 shown]
	v_fmac_f16_e64 v195, v110, v15
	v_fmac_f16_e64 v199, v134, v16
	;; [unrolled: 1-line block ×4, first 2 shown]
	v_fma_f16 v25, v25, v15, -v183
	v_fma_f16 v29, v29, v16, -v186
	v_fmac_f16_e64 v201, v169, v15
	v_fmac_f16_e64 v202, v172, v16
	v_add_f16_e32 v110, v26, v30
	v_add_f16_e32 v111, v32, v26
	v_add_f16_e64 v134, v184, v187
	v_add_f16_e64 v165, v173, v184
	v_fma_f16 v33, v33, v15, -v168
	v_fma_f16 v35, v35, v16, -v188
	v_add_f16_e64 v168, v34, v36
	v_add_f16_e64 v176, v190, v192
	v_fmac_f16_e64 v170, v177, v15
	v_fmac_f16_e64 v191, v179, v16
	v_sub_f16_e64 v169, v184, v187
	v_add_f16_e64 v178, v180, v190
	v_sub_f16_e64 v183, v190, v192
	v_add_f16_e64 v177, v18, v22
	v_add_f16_e64 v184, v196, v200
	;; [unrolled: 1-line block ×3, first 2 shown]
	v_sub_f16_e64 v188, v196, v200
	v_add_f16_e64 v190, v17, v21
	v_add_f16_e64 v193, v23, v17
	;; [unrolled: 1-line block ×4, first 2 shown]
	v_sub_f16_e32 v26, v26, v30
	v_add_f16_e64 v172, v40, v34
	v_sub_f16_e32 v34, v34, v36
	v_add_f16_e64 v179, v24, v18
	v_fmac_f16_e32 v32, -0.5, v110
	v_fmac_f16_e64 v173, -0.5, v134
	v_add_f16_e32 v110, v25, v29
	v_add_f16_e64 v134, v31, v25
	v_add_f16_e64 v197, v175, v201
	;; [unrolled: 1-line block ×3, first 2 shown]
	v_add_f16_e32 v30, v111, v30
	v_add_f16_e64 v111, v165, v187
	v_fmac_f16_e64 v40, -0.5, v168
	v_fmac_f16_e64 v180, -0.5, v176
	v_add_f16_e64 v165, v33, v35
	v_add_f16_e64 v168, v39, v33
	;; [unrolled: 1-line block ×4, first 2 shown]
	v_sub_f16_e32 v18, v18, v22
	v_sub_f16_e64 v195, v195, v199
	v_sub_f16_e32 v17, v17, v21
	v_fmac_f16_e64 v24, -0.5, v177
	v_fmac_f16_e64 v166, -0.5, v184
	v_fma_f16 v23, -0.5, v190, v23
	v_add_f16_e64 v177, v194, v199
	v_add_f16_e64 v21, v193, v21
	v_fmac_f16_e64 v167, -0.5, v196
	v_sub_f16_e64 v201, v201, v202
	v_sub_f16_e32 v25, v25, v29
	v_sub_f16_e32 v33, v33, v35
	v_sub_f16_e64 v170, v170, v191
	v_add_f16_e64 v36, v172, v36
	v_add_f16_e64 v172, v178, v192
	;; [unrolled: 1-line block ×4, first 2 shown]
	v_fma_f16 v179, 0x3aee, v169, v32
	v_fmac_f16_e64 v32, 0xbaee, v169
	v_fma_f16 v169, 0xbaee, v26, v173
	v_fmac_f16_e64 v173, 0x3aee, v26
	v_fma_f16 v26, -0.5, v110, v31
	v_add_f16_e64 v31, v197, v202
	v_add_f16_e64 v29, v134, v29
	v_fmac_f16_e64 v175, -0.5, v198
	v_pack_b32_f16 v30, v30, v111
	v_fma_f16 v111, 0xbaee, v34, v180
	v_fmac_f16_e64 v180, 0x3aee, v34
	v_fma_f16 v34, -0.5, v165, v39
	v_add_f16_e64 v35, v168, v35
	v_add_f16_e64 v39, v176, v191
	v_fmac_f16_e64 v181, -0.5, v187
	v_fma_f16 v165, 0xbaee, v18, v166
	v_fmac_f16_e64 v166, 0x3aee, v18
	v_pack_b32_f16 v18, v21, v177
	v_fma_f16 v21, 0x3aee, v195, v23
	v_fma_f16 v168, 0xbaee, v17, v167
	v_fmac_f16_e64 v23, 0xbaee, v195
	v_fmac_f16_e64 v167, 0x3aee, v17
	v_fma_f16 v110, 0x3aee, v183, v40
	v_fma_f16 v134, 0x3aee, v188, v24
	v_fmac_f16_e64 v24, 0xbaee, v188
	v_pack_b32_f16 v17, v22, v178
	v_pack_b32_f16 v22, v32, v173
	;; [unrolled: 1-line block ×3, first 2 shown]
	v_fma_f16 v31, 0x3aee, v201, v26
	v_fma_f16 v32, 0xbaee, v25, v175
	v_fmac_f16_e64 v175, 0x3aee, v25
	v_pack_b32_f16 v25, v179, v169
	v_pack_b32_f16 v35, v35, v39
	v_fma_f16 v39, 0x3aee, v170, v34
	v_fma_f16 v169, 0xbaee, v33, v181
	v_fmac_f16_e64 v40, 0xbaee, v183
	v_fmac_f16_e64 v26, 0xbaee, v201
	;; [unrolled: 1-line block ×4, first 2 shown]
	v_pack_b32_f16 v21, v21, v168
	v_pack_b32_f16 v23, v23, v167
	;; [unrolled: 1-line block ×11, first 2 shown]
	ds_store_2addr_b32 v160, v18, v21 offset1:32
	ds_store_b32 v160, v23 offset:256
	ds_store_2addr_b32 v157, v17, v110 offset1:32
	ds_store_b32 v157, v24 offset:256
	;; [unrolled: 2-line block ×6, first 2 shown]
	s_waitcnt lgkmcnt(0)
	s_barrier
	buffer_gl0_inv
	s_clause 0x3
	global_load_b64 v[31:32], v[19:20], off offset:376
	global_load_b64 v[21:22], v[27:28], off offset:376
	;; [unrolled: 1-line block ×3, first 2 shown]
	global_load_b64 v[29:30], v105, s[10:11] offset:376
	v_add_co_u32 v13, s2, s10, v106
	s_delay_alu instid0(VALU_DEP_1)
	v_add_co_ci_u32_e64 v14, null, s11, 0, s2
	s_clause 0x1
	global_load_b64 v[19:20], v[37:38], off offset:376
	global_load_b64 v[17:18], v[13:14], off offset:376
	v_cndmask_b32_e64 v13, 0, 0x120, vcc_lo
	v_mad_u16 v25, 0x120, v45, v48
	v_mad_u16 v14, 0x120, v44, v47
	v_and_b32_e32 v33, 0xffff, v1
	ds_load_2addr_b32 v[35:36], v7 offset0:96 offset1:208
	v_add_nc_u32_e32 v0, v0, v13
	v_and_b32_e32 v13, 0xffff, v41
	v_and_b32_e32 v41, 0xffff, v14
	v_lshl_add_u32 v111, v33, 2, v100
	v_add_nc_u32_e32 v39, 0x400, v58
	v_lshl_add_u32 v134, v0, 2, v100
	v_mul_u32_u24_e32 v0, 0x120, v13
	v_mad_u16 v13, 0x120, v42, v46
	v_and_b32_e32 v42, 0xffff, v25
	ds_load_2addr_b32 v[25:26], v5 offset0:128 offset1:240
	v_lshl_add_u32 v106, v41, 2, v100
	v_add_nc_u32_e32 v27, v0, v104
	ds_load_2addr_b32 v[0:1], v11 offset0:32 offset1:144
	v_and_b32_e32 v34, 0xffff, v13
	ds_load_2addr_b32 v[10:11], v10 offset0:64 offset1:176
	ds_load_2addr_b32 v[13:14], v58 offset1:112
	v_lshl_add_u32 v110, v27, 2, v100
	ds_load_2addr_b32 v[27:28], v9 offset0:32 offset1:144
	v_lshl_add_u32 v104, v34, 2, v100
	ds_load_2addr_b32 v[37:38], v4 offset0:96 offset1:208
	ds_load_2addr_b32 v[7:8], v8 offset1:112
	ds_load_2addr_b32 v[33:34], v6 offset0:64 offset1:176
	v_lshl_add_u32 v105, v42, 2, v100
	s_waitcnt lgkmcnt(8)
	v_lshrrev_b32_e32 v181, 16, v36
	v_lshrrev_b32_e32 v183, 16, v35
	v_add_nc_u32_e32 v40, 0x800, v58
	v_add_nc_u32_e32 v179, 0x1600, v58
	;; [unrolled: 1-line block ×3, first 2 shown]
	s_waitcnt vmcnt(0) lgkmcnt(0)
	s_barrier
	buffer_gl0_inv
	v_lshrrev_b32_e32 v45, 16, v25
	v_lshrrev_b32_e32 v46, 16, v26
	s_load_b64 s[2:3], s[0:1], 0x38
	v_lshrrev_b32_e32 v6, 16, v0
	v_lshrrev_b32_e32 v9, 16, v1
	;; [unrolled: 1-line block ×14, first 2 shown]
	v_cmp_gt_u16_e32 vcc_lo, 64, v2
	v_lshrrev_b32_e32 v178, 16, v31
	v_lshrrev_b32_e32 v177, 16, v32
	;; [unrolled: 1-line block ×8, first 2 shown]
	v_mul_f16_e64 v190, v6, v178
	v_lshrrev_b32_e32 v167, 16, v19
	v_lshrrev_b32_e32 v168, 16, v20
	v_lshrrev_b32_e32 v166, 16, v17
	v_lshrrev_b32_e32 v165, 16, v18
	v_mul_f16_e64 v191, v9, v176
	v_mul_f16_e64 v192, v0, v178
	;; [unrolled: 1-line block ×23, first 2 shown]
	v_fma_f16 v0, v0, v31, -v190
	v_fma_f16 v1, v1, v29, -v191
	;; [unrolled: 1-line block ×4, first 2 shown]
	v_fmac_f16_e64 v192, v6, v31
	v_fmac_f16_e64 v198, v41, v32
	;; [unrolled: 1-line block ×4, first 2 shown]
	v_fma_f16 v6, v25, v23, -v200
	v_fma_f16 v9, v26, v21, -v201
	;; [unrolled: 1-line block ×4, first 2 shown]
	v_fmac_f16_e64 v202, v45, v23
	v_fmac_f16_e64 v206, v47, v24
	;; [unrolled: 1-line block ×6, first 2 shown]
	v_fma_f16 v27, v37, v19, -v210
	v_fma_f16 v7, v7, v20, -v211
	v_fma_f16 v28, v38, v17, -v212
	v_fma_f16 v8, v8, v18, -v214
	v_fmac_f16_e64 v213, v187, v17
	v_fmac_f16_e64 v215, v188, v18
	v_add_f16_e32 v37, v1, v11
	v_add_f16_e64 v41, v193, v199
	v_add_f16_e32 v46, v0, v10
	v_add_f16_e32 v47, v13, v0
	v_add_f16_e64 v48, v44, v192
	v_add_f16_e64 v184, v192, v198
	v_add_f16_e32 v38, v14, v1
	v_add_f16_e64 v42, v43, v193
	v_sub_f16_e64 v45, v193, v199
	v_sub_f16_e64 v186, v192, v198
	v_add_f16_e64 v187, v9, v26
	v_add_f16_e64 v188, v36, v9
	;; [unrolled: 1-line block ×4, first 2 shown]
	v_sub_f16_e64 v192, v203, v207
	v_add_f16_e64 v193, v6, v25
	v_add_f16_e64 v196, v35, v6
	;; [unrolled: 1-line block ×4, first 2 shown]
	v_sub_f16_e64 v201, v202, v206
	v_add_f16_e64 v202, v194, v208
	v_sub_f16_e64 v203, v208, v209
	v_add_f16_e64 v204, v208, v209
	v_add_f16_e64 v208, v27, v7
	;; [unrolled: 1-line block ×4, first 2 shown]
	v_sub_f16_e32 v1, v1, v11
	v_sub_f16_e32 v0, v0, v10
	v_add_f16_e64 v210, v34, v28
	v_fmac_f16_e32 v14, -0.5, v37
	v_fmac_f16_e32 v43, -0.5, v41
	v_fma_f16 v13, -0.5, v46, v13
	v_add_f16_e32 v10, v47, v10
	v_add_f16_e64 v37, v48, v198
	v_fmac_f16_e64 v44, -0.5, v184
	v_sub_f16_e32 v9, v9, v26
	v_sub_f16_e32 v6, v6, v25
	v_add_f16_e64 v205, v33, v27
	v_sub_f16_e32 v27, v27, v7
	v_sub_f16_e32 v28, v28, v8
	v_add_f16_e64 v212, v195, v213
	v_sub_f16_e64 v213, v213, v215
	v_add_f16_e32 v11, v38, v11
	v_add_f16_e64 v38, v42, v199
	v_fmac_f16_e64 v36, -0.5, v187
	v_fmac_f16_e64 v181, -0.5, v190
	v_fma_f16 v35, -0.5, v193, v35
	v_add_f16_e64 v41, v197, v206
	v_add_f16_e64 v25, v196, v25
	v_fmac_f16_e64 v183, -0.5, v200
	v_add_f16_e64 v26, v188, v26
	v_add_f16_e64 v42, v191, v207
	v_fmac_f16_e64 v194, -0.5, v204
	v_fma_f16 v33, -0.5, v208, v33
	v_fmac_f16_e64 v34, -0.5, v211
	v_fmac_f16_e64 v195, -0.5, v214
	v_add_f16_e64 v196, v210, v8
	v_fmamk_f16 v8, v45, 0x3aee, v14
	v_fmac_f16_e32 v14, 0xbaee, v45
	v_fmamk_f16 v45, v1, 0xbaee, v43
	v_fmac_f16_e32 v43, 0x3aee, v1
	v_pack_b32_f16 v1, v10, v37
	v_fma_f16 v10, 0x3aee, v186, v13
	v_fmamk_f16 v37, v0, 0xbaee, v44
	v_fmac_f16_e64 v13, 0xbaee, v186
	v_fmac_f16_e32 v44, 0x3aee, v0
	v_pack_b32_f16 v0, v11, v38
	v_fma_f16 v11, 0x3aee, v192, v36
	v_fmac_f16_e64 v36, 0xbaee, v192
	v_fma_f16 v38, 0xbaee, v9, v181
	v_fmac_f16_e64 v181, 0x3aee, v9
	v_pack_b32_f16 v9, v25, v41
	v_fma_f16 v25, 0x3aee, v201, v35
	v_fma_f16 v41, 0xbaee, v6, v183
	v_fmac_f16_e64 v35, 0xbaee, v201
	v_fmac_f16_e64 v183, 0x3aee, v6
	v_pack_b32_f16 v6, v26, v42
	v_fma_f16 v26, 0x3aee, v203, v33
	v_fma_f16 v42, 0xbaee, v27, v194
	v_fmac_f16_e64 v33, 0xbaee, v203
	v_fmac_f16_e64 v194, 0x3aee, v27
	v_fma_f16 v198, 0x3aee, v213, v34
	v_fma_f16 v199, 0xbaee, v28, v195
	v_fmac_f16_e64 v34, 0xbaee, v213
	v_fmac_f16_e64 v195, 0x3aee, v28
	v_add_f16_e64 v46, v202, v209
	v_add_f16_e64 v7, v205, v7
	;; [unrolled: 1-line block ×3, first 2 shown]
	v_pack_b32_f16 v10, v10, v37
	v_pack_b32_f16 v13, v13, v44
	;; [unrolled: 1-line block ×14, first 2 shown]
	ds_store_2addr_b32 v134, v1, v10 offset1:96
	ds_store_b32 v134, v13 offset:768
	ds_store_2addr_b32 v110, v0, v8 offset1:96
	ds_store_b32 v110, v14 offset:768
	;; [unrolled: 2-line block ×6, first 2 shown]
	s_waitcnt lgkmcnt(0)
	s_barrier
	buffer_gl0_inv
	ds_load_2addr_b32 v[47:48], v39 offset0:32 offset1:144
	ds_load_2addr_b32 v[45:46], v40 offset0:64 offset1:176
	;; [unrolled: 1-line block ×6, first 2 shown]
	ds_load_2addr_b32 v[35:36], v58 offset1:112
                                        ; implicit-def: $vgpr200
                                        ; implicit-def: $vgpr203
                                        ; implicit-def: $vgpr202
                                        ; implicit-def: $vgpr204
                                        ; implicit-def: $vgpr201
                                        ; implicit-def: $vgpr205
	s_and_saveexec_b32 s0, vcc_lo
	s_cbranch_execz .LBB0_3
; %bb.2:
	ds_load_b32 v33, v58 offset:896
	ds_load_b32 v196, v58 offset:2048
	ds_load_b32 v198, v58 offset:3200
	ds_load_b32 v34, v58 offset:4352
	ds_load_b32 v201, v58 offset:5504
	ds_load_b32 v200, v58 offset:6656
	ds_load_b32 v202, v58 offset:7808
	s_waitcnt lgkmcnt(6)
	v_lshrrev_b32_e32 v194, 16, v33
	s_waitcnt lgkmcnt(5)
	v_lshrrev_b32_e32 v197, 16, v196
	;; [unrolled: 2-line block ×7, first 2 shown]
.LBB0_3:
	s_or_b32 exec_lo, exec_lo, s0
	v_mad_u64_u32 v[0:1], null, v77, 24, s[10:11]
	s_waitcnt lgkmcnt(6)
	v_lshrrev_b32_e32 v207, 16, v47
	s_waitcnt lgkmcnt(5)
	v_lshrrev_b32_e32 v208, 16, v45
	;; [unrolled: 2-line block ×6, first 2 shown]
	s_clause 0x3
	global_load_b128 v[8:11], v[0:1], off offset:1144
	global_load_b64 v[25:26], v[0:1], off offset:1160
	global_load_b128 v[4:7], v[0:1], off offset:3832
	global_load_b64 v[27:28], v[0:1], off offset:3848
	v_subrev_nc_u32_e32 v0, 64, v77
	v_lshrrev_b32_e32 v214, 16, v48
	v_lshrrev_b32_e32 v215, 16, v46
	;; [unrolled: 1-line block ×4, first 2 shown]
	v_cndmask_b32_e32 v0, v0, v3, vcc_lo
	v_lshrrev_b32_e32 v218, 16, v40
	v_lshrrev_b32_e32 v219, 16, v38
	s_waitcnt lgkmcnt(0)
	v_lshrrev_b32_e32 v206, 16, v35
	v_lshrrev_b32_e32 v213, 16, v36
	v_mul_i32_i24_e32 v1, 24, v0
	v_mul_hi_i32_i24_e32 v0, 24, v0
	v_lshl_add_u32 v100, v77, 2, v100
	s_delay_alu instid0(VALU_DEP_3) | instskip(NEXT) | instid1(VALU_DEP_1)
	v_add_co_u32 v13, s0, s10, v1
	v_add_co_ci_u32_e64 v14, s0, s11, v0, s0
	s_clause 0x1
	global_load_b128 v[0:3], v[13:14], off offset:1144
	global_load_b64 v[13:14], v[13:14], off offset:1160
	s_waitcnt vmcnt(5)
	v_lshrrev_b32_e32 v193, 16, v8
	v_lshrrev_b32_e32 v192, 16, v9
	v_lshrrev_b32_e32 v191, 16, v10
	v_lshrrev_b32_e32 v190, 16, v11
	s_waitcnt vmcnt(4)
	v_lshrrev_b32_e32 v188, 16, v25
	v_lshrrev_b32_e32 v187, 16, v26
	s_waitcnt vmcnt(3)
	v_lshrrev_b32_e32 v186, 16, v4
	v_lshrrev_b32_e32 v184, 16, v5
	;; [unrolled: 1-line block ×4, first 2 shown]
	s_waitcnt vmcnt(2)
	v_lshrrev_b32_e32 v180, 16, v27
	v_lshrrev_b32_e32 v179, 16, v28
	v_mul_f16_e64 v220, v207, v193
	v_mul_f16_e64 v221, v47, v193
	;; [unrolled: 1-line block ×24, first 2 shown]
	v_fma_f16 v47, v47, v8, -v220
	v_fmac_f16_e64 v221, v207, v8
	v_fma_f16 v45, v45, v9, -v222
	v_fmac_f16_e64 v223, v208, v9
	;; [unrolled: 2-line block ×12, first 2 shown]
	s_waitcnt vmcnt(1)
	v_lshrrev_b32_e32 v41, 16, v0
	v_lshrrev_b32_e32 v39, 16, v1
	s_waitcnt vmcnt(0)
	v_lshrrev_b32_e32 v40, 16, v13
	v_lshrrev_b32_e32 v42, 16, v14
	;; [unrolled: 1-line block ×4, first 2 shown]
	v_add_f16_e64 v214, v47, v209
	v_add_f16_e64 v215, v221, v231
	v_sub_f16_e64 v47, v47, v209
	v_sub_f16_e64 v209, v221, v231
	v_add_f16_e64 v216, v45, v208
	v_add_f16_e64 v217, v223, v229
	v_sub_f16_e64 v45, v45, v208
	v_sub_f16_e64 v208, v223, v229
	;; [unrolled: 4-line block ×3, first 2 shown]
	v_add_f16_e64 v220, v48, v212
	v_add_f16_e64 v221, v233, v243
	;; [unrolled: 1-line block ×4, first 2 shown]
	v_sub_f16_e64 v46, v46, v211
	v_sub_f16_e64 v211, v235, v241
	v_add_f16_e64 v224, v44, v210
	v_add_f16_e64 v225, v237, v239
	v_sub_f16_e64 v44, v210, v44
	v_sub_f16_e64 v210, v239, v237
	v_mul_f16_e64 v226, v197, v41
	v_mul_f16_e64 v227, v196, v41
	;; [unrolled: 1-line block ×8, first 2 shown]
	v_sub_f16_e64 v48, v48, v212
	v_sub_f16_e64 v212, v233, v243
	v_mul_f16_e64 v230, v195, v37
	v_mul_f16_e64 v231, v34, v37
	;; [unrolled: 1-line block ×4, first 2 shown]
	v_add_f16_e64 v238, v216, v214
	v_add_f16_e64 v239, v217, v215
	v_sub_f16_e64 v240, v216, v214
	v_sub_f16_e64 v241, v217, v215
	;; [unrolled: 1-line block ×4, first 2 shown]
	v_add_f16_e64 v242, v43, v45
	v_add_f16_e64 v243, v207, v208
	v_sub_f16_e64 v244, v43, v45
	v_sub_f16_e64 v245, v207, v208
	v_sub_f16_e32 v45, v45, v47
	v_sub_f16_e64 v208, v208, v209
	v_add_f16_e64 v246, v222, v220
	v_add_f16_e64 v247, v223, v221
	v_sub_f16_e64 v248, v222, v220
	v_sub_f16_e64 v249, v223, v221
	;; [unrolled: 1-line block ×4, first 2 shown]
	v_fma_f16 v196, v196, v0, -v226
	v_fmac_f16_e64 v227, v197, v0
	v_fma_f16 v197, v198, v1, -v228
	v_fmac_f16_e64 v229, v199, v1
	;; [unrolled: 2-line block ×4, first 2 shown]
	v_sub_f16_e64 v216, v218, v216
	v_sub_f16_e64 v217, v219, v217
	v_sub_f16_e32 v43, v47, v43
	v_sub_f16_e64 v207, v209, v207
	v_sub_f16_e64 v220, v220, v224
	;; [unrolled: 1-line block ×3, first 2 shown]
	v_add_f16_e64 v250, v44, v46
	v_add_f16_e64 v251, v210, v211
	v_sub_f16_e64 v252, v44, v46
	v_sub_f16_e64 v253, v210, v211
	v_sub_f16_e32 v46, v46, v48
	v_sub_f16_e64 v211, v211, v212
	v_fma_f16 v34, v34, v2, -v230
	v_fmac_f16_e64 v231, v195, v2
	v_fma_f16 v195, v201, v3, -v232
	v_fmac_f16_e64 v233, v205, v3
	v_add_f16_e64 v200, v218, v238
	v_add_f16_e64 v201, v219, v239
	v_mul_f16_e64 v203, 0x3a52, v214
	v_mul_f16_e64 v204, 0x3a52, v215
	;; [unrolled: 1-line block ×6, first 2 shown]
	v_add_f16_e64 v224, v224, v246
	v_add_f16_e64 v225, v225, v247
	v_mul_f16_e64 v226, 0x2b26, v222
	v_mul_f16_e64 v228, 0x2b26, v223
	v_add_f16_e64 v238, v196, v199
	v_add_f16_e64 v239, v227, v237
	v_sub_f16_e64 v196, v196, v199
	v_sub_f16_e64 v199, v227, v237
	v_add_f16_e64 v227, v197, v198
	v_add_f16_e64 v237, v229, v235
	v_sub_f16_e32 v44, v48, v44
	v_sub_f16_e64 v210, v212, v210
	v_add_f16_e64 v47, v242, v47
	v_add_f16_e64 v202, v243, v209
	v_mul_f16_e64 v205, 0x2b26, v216
	v_mul_f16_e64 v209, 0x2b26, v217
	;; [unrolled: 1-line block ×8, first 2 shown]
	v_sub_f16_e64 v197, v197, v198
	v_sub_f16_e64 v198, v229, v235
	v_add_f16_e64 v229, v34, v195
	v_add_f16_e64 v235, v231, v233
	v_sub_f16_e64 v34, v195, v34
	v_sub_f16_e64 v195, v233, v231
	v_add_f16_e64 v35, v35, v200
	v_add_f16_e64 v206, v206, v201
	v_fma_f16 v231, 0x3574, v43, v214
	v_fma_f16 v233, 0x3574, v207, v215
	v_fma_f16 v45, v45, 0x3b00, -v214
	v_fma_f16 v208, v208, 0x3b00, -v215
	;; [unrolled: 1-line block ×4, first 2 shown]
	v_add_f16_e64 v36, v36, v224
	v_add_f16_e64 v213, v213, v225
	v_fma_f16 v218, v248, 0x39e0, -v226
	v_fma_f16 v219, v249, 0x39e0, -v228
	v_add_f16_e64 v226, v227, v238
	v_add_f16_e64 v228, v237, v239
	;; [unrolled: 1-line block ×4, first 2 shown]
	v_fma_f16 v216, 0x2b26, v216, v203
	v_fma_f16 v217, 0x2b26, v217, v204
	v_fma_f16 v205, v240, 0x39e0, -v205
	v_fma_f16 v209, v241, 0x39e0, -v209
	;; [unrolled: 1-line block ×4, first 2 shown]
	v_fma_f16 v214, 0x2b26, v222, v220
	v_fma_f16 v215, 0x2b26, v223, v221
	v_fma_f16 v221, v249, 0xb9e0, -v221
	v_fma_f16 v222, 0x3574, v44, v230
	v_fma_f16 v223, 0x3574, v210, v232
	v_fma_f16 v46, v46, 0x3b00, -v230
	v_fma_f16 v211, v211, 0x3b00, -v232
	;; [unrolled: 1-line block ×4, first 2 shown]
	v_sub_f16_e64 v230, v227, v238
	v_sub_f16_e64 v232, v237, v239
	;; [unrolled: 1-line block ×6, first 2 shown]
	v_add_f16_e64 v238, v34, v197
	v_add_f16_e64 v239, v195, v198
	v_sub_f16_e64 v240, v34, v197
	v_sub_f16_e64 v241, v195, v198
	;; [unrolled: 1-line block ×5, first 2 shown]
	v_fma_f16 v34, 0xbcab, v200, v35
	v_fma_f16 v200, 0xbcab, v201, v206
	v_fmac_f16_e64 v231, 0x370e, v47
	v_fmac_f16_e64 v233, 0x370e, v202
	v_fmac_f16_e32 v45, 0x370e, v47
	v_fmac_f16_e64 v208, 0x370e, v202
	v_fmac_f16_e32 v43, 0x370e, v47
	v_fmac_f16_e64 v207, 0x370e, v202
	v_fma_f16 v47, 0xbcab, v224, v36
	v_fma_f16 v201, 0xbcab, v225, v213
	v_pack_b32_f16 v35, v35, v206
	v_add_f16_e64 v202, v229, v226
	v_add_f16_e64 v206, v235, v228
	v_fma_f16 v220, v248, 0xb9e0, -v220
	v_sub_f16_e64 v195, v199, v195
	v_fmac_f16_e64 v222, 0x370e, v48
	v_fmac_f16_e64 v223, 0x370e, v212
	v_fmac_f16_e32 v46, 0x370e, v48
	v_fmac_f16_e64 v211, 0x370e, v212
	v_fmac_f16_e32 v44, 0x370e, v48
	v_fmac_f16_e64 v210, 0x370e, v212
	v_pack_b32_f16 v36, v36, v213
	v_add_f16_e64 v212, v238, v196
	v_mul_f16_e64 v48, 0x3a52, v234
	v_mul_f16_e64 v196, 0x3a52, v236
	;; [unrolled: 1-line block ×8, first 2 shown]
	v_add_f16_e64 v216, v216, v34
	v_add_f16_e64 v217, v217, v200
	;; [unrolled: 1-line block ×15, first 2 shown]
	v_fma_f16 v220, 0x2b26, v227, v48
	v_fma_f16 v221, 0x2b26, v237, v196
	v_fma_f16 v213, v230, 0x39e0, -v213
	v_fma_f16 v224, v232, 0x39e0, -v224
	;; [unrolled: 1-line block ×4, first 2 shown]
	v_fma_f16 v194, 0x3574, v242, v225
	v_fma_f16 v47, 0x3574, v195, v226
	v_fma_f16 v196, v197, 0x3b00, -v225
	v_fma_f16 v48, v198, 0x3b00, -v226
	;; [unrolled: 1-line block ×4, first 2 shown]
	v_add_f16_e64 v198, v233, v216
	v_sub_f16_e64 v225, v217, v231
	v_add_f16_e64 v226, v207, v203
	v_sub_f16_e64 v228, v200, v43
	v_sub_f16_e64 v229, v205, v208
	v_add_f16_e64 v232, v45, v209
	v_add_f16_e64 v205, v208, v205
	v_sub_f16_e64 v45, v209, v45
	v_sub_f16_e64 v203, v203, v207
	v_add_f16_e64 v43, v43, v200
	v_sub_f16_e64 v200, v216, v233
	v_add_f16_e64 v207, v231, v217
	v_add_f16_e64 v208, v223, v204
	v_sub_f16_e64 v209, v214, v222
	v_sub_f16_e64 v217, v201, v44
	v_add_f16_e64 v44, v44, v201
	v_sub_f16_e64 v201, v204, v223
	v_add_f16_e64 v204, v222, v214
	v_fma_f16 v214, 0xbcab, v202, v33
	v_fma_f16 v206, 0xbcab, v206, v34
	v_add_f16_e64 v216, v210, v219
	v_sub_f16_e64 v231, v215, v211
	v_add_f16_e64 v233, v46, v218
	v_add_f16_e64 v211, v211, v215
	v_sub_f16_e64 v46, v218, v46
	v_sub_f16_e64 v210, v219, v210
	v_fmac_f16_e64 v194, 0x370e, v212
	v_fmac_f16_e64 v47, 0x370e, v199
	;; [unrolled: 1-line block ×6, first 2 shown]
	v_pack_b32_f16 v212, v198, v225
	v_pack_b32_f16 v45, v205, v45
	;; [unrolled: 1-line block ×5, first 2 shown]
	v_add_f16_e64 v198, v220, v214
	v_add_f16_e64 v201, v221, v206
	;; [unrolled: 1-line block ×6, first 2 shown]
	v_pack_b32_f16 v215, v226, v228
	v_pack_b32_f16 v218, v229, v232
	;; [unrolled: 1-line block ×6, first 2 shown]
	ds_store_b32 v100, v212 offset:1152
	ds_store_b32 v100, v215 offset:2304
	;; [unrolled: 1-line block ×6, first 2 shown]
	ds_store_2addr_b32 v58, v35, v36 offset1:112
	ds_store_b32 v100, v207 offset:1600
	v_add_f16_e64 v35, v48, v199
	v_sub_f16_e64 v43, v202, v196
	v_sub_f16_e64 v36, v200, v195
	v_add_f16_e64 v44, v197, v203
	v_sub_f16_e64 v45, v198, v47
	v_add_f16_e64 v46, v194, v201
	v_pack_b32_f16 v209, v231, v233
	ds_store_b32 v100, v208 offset:2752
	ds_store_b32 v100, v209 offset:3904
	;; [unrolled: 1-line block ×5, first 2 shown]
	s_and_saveexec_b32 s0, vcc_lo
	s_cbranch_execz .LBB0_5
; %bb.4:
	v_sub_f16_e64 v194, v201, v194
	v_perm_b32 v33, v34, v33, 0x5040100
	v_add_f16_e64 v34, v47, v198
	v_sub_f16_e64 v197, v203, v197
	v_add_f16_e64 v47, v195, v200
	v_add_f16_e64 v196, v196, v202
	v_sub_f16_e64 v48, v199, v48
	ds_store_b32 v58, v33 offset:896
	v_pack_b32_f16 v33, v34, v194
	v_pack_b32_f16 v34, v47, v197
	v_perm_b32 v194, v44, v36, 0x5040100
	v_pack_b32_f16 v47, v48, v196
	v_perm_b32 v48, v43, v35, 0x5040100
	v_perm_b32 v195, v46, v45, 0x5040100
	ds_store_b32 v100, v33 offset:2048
	ds_store_b32 v100, v34 offset:3200
	;; [unrolled: 1-line block ×6, first 2 shown]
.LBB0_5:
	s_or_b32 exec_lo, exec_lo, s0
	v_lshlrev_b32_e32 v47, 2, v77
	s_add_u32 s8, s8, 0x1f80
	s_addc_u32 s9, s9, 0
	s_waitcnt lgkmcnt(0)
	s_barrier
	buffer_gl0_inv
	s_clause 0x7
	global_load_b32 v48, v47, s[8:9] offset:448
	global_load_b32 v196, v47, s[8:9] offset:896
	;; [unrolled: 1-line block ×6, first 2 shown]
	global_load_b32 v202, v89, s[8:9]
	global_load_b32 v89, v47, s[8:9]
	ds_load_2addr_b32 v[33:34], v58 offset1:112
	s_waitcnt lgkmcnt(0)
	v_lshrrev_b32_e32 v195, 16, v33
	s_waitcnt vmcnt(2)
	v_lshrrev_b32_e32 v211, 16, v201
	s_waitcnt vmcnt(0)
	v_lshrrev_b32_e32 v194, 16, v89
	s_delay_alu instid0(VALU_DEP_1) | instskip(SKIP_1) | instid1(VALU_DEP_2)
	v_mul_f16_e64 v203, v33, v194
	v_mul_f16_e64 v194, v195, v194
	v_fmac_f16_e64 v203, v195, v89
	s_delay_alu instid0(VALU_DEP_2) | instskip(SKIP_2) | instid1(VALU_DEP_3)
	v_fma_f16 v89, v33, v89, -v194
	v_lshrrev_b32_e32 v194, 16, v48
	v_lshrrev_b32_e32 v33, 16, v34
	v_pack_b32_f16 v89, v89, v203
	s_delay_alu instid0(VALU_DEP_3) | instskip(NEXT) | instid1(VALU_DEP_3)
	v_mul_f16_e64 v204, v34, v194
	v_mul_f16_e64 v195, v33, v194
	s_delay_alu instid0(VALU_DEP_2) | instskip(SKIP_1) | instid1(VALU_DEP_3)
	v_fmac_f16_e64 v204, v33, v48
	v_add_nc_u32_e32 v33, 0x200, v58
	v_fma_f16 v205, v34, v48, -v195
	v_lshrrev_b32_e32 v34, 16, v196
	ds_load_2addr_b32 v[194:195], v33 offset0:96 offset1:208
	s_waitcnt lgkmcnt(0)
	v_lshrrev_b32_e32 v48, 16, v194
	v_mul_f16_e64 v206, v194, v34
	s_delay_alu instid0(VALU_DEP_2) | instskip(NEXT) | instid1(VALU_DEP_2)
	v_mul_f16_e32 v34, v48, v34
	v_fmac_f16_e64 v206, v48, v196
	s_delay_alu instid0(VALU_DEP_2) | instskip(SKIP_2) | instid1(VALU_DEP_3)
	v_fma_f16 v48, v194, v196, -v34
	v_lshrrev_b32_e32 v194, 16, v197
	v_lshrrev_b32_e32 v34, 16, v195
	v_pack_b32_f16 v48, v48, v206
	s_delay_alu instid0(VALU_DEP_3) | instskip(NEXT) | instid1(VALU_DEP_3)
	v_mul_f16_e64 v207, v195, v194
	v_mul_f16_e64 v196, v34, v194
	s_delay_alu instid0(VALU_DEP_2) | instskip(SKIP_1) | instid1(VALU_DEP_3)
	v_fmac_f16_e64 v207, v34, v197
	v_add_nc_u32_e32 v34, 0x600, v58
	v_fma_f16 v196, v195, v197, -v196
	v_lshrrev_b32_e32 v197, 16, v198
	ds_load_2addr_b32 v[194:195], v34 offset0:64 offset1:176
	s_waitcnt lgkmcnt(0)
	v_lshrrev_b32_e32 v200, 16, v194
	v_mul_f16_e64 v208, v194, v197
	s_delay_alu instid0(VALU_DEP_2) | instskip(NEXT) | instid1(VALU_DEP_2)
	v_mul_f16_e64 v197, v200, v197
	v_fmac_f16_e64 v208, v200, v198
	s_delay_alu instid0(VALU_DEP_2) | instskip(SKIP_2) | instid1(VALU_DEP_1)
	v_fma_f16 v194, v194, v198, -v197
	v_lshrrev_b32_e32 v197, 16, v195
	v_lshrrev_b32_e32 v198, 16, v199
	v_mul_f16_e64 v200, v197, v198
	v_mul_f16_e64 v209, v195, v198
	s_delay_alu instid0(VALU_DEP_2) | instskip(SKIP_1) | instid1(VALU_DEP_3)
	v_fma_f16 v210, v195, v199, -v200
	v_add_co_u32 v195, s0, s8, v47
	v_fmac_f16_e64 v209, v197, v199
	v_add_co_ci_u32_e64 v198, null, s9, 0, s0
	s_delay_alu instid0(VALU_DEP_3) | instskip(SKIP_1) | instid1(VALU_DEP_3)
	v_add_co_u32 v197, s0, 0x1000, v195
	v_add_nc_u32_e32 v195, 0xa00, v58
	v_add_co_ci_u32_e64 v198, s0, 0, v198, s0
	ds_load_2addr_b32 v[199:200], v195 offset0:32 offset1:144
	s_waitcnt lgkmcnt(0)
	v_lshrrev_b32_e32 v212, 16, v199
	v_mul_f16_e64 v213, v199, v211
	v_lshrrev_b32_e32 v218, 16, v200
	s_delay_alu instid0(VALU_DEP_3) | instskip(NEXT) | instid1(VALU_DEP_3)
	v_mul_f16_e64 v211, v212, v211
	v_fmac_f16_e64 v213, v212, v201
	s_delay_alu instid0(VALU_DEP_2)
	v_fma_f16 v201, v199, v201, -v211
	s_clause 0x6
	global_load_b32 v199, v47, s[8:9] offset:3136
	global_load_b32 v211, v[197:198], off offset:384
	global_load_b32 v212, v[197:198], off offset:832
	;; [unrolled: 1-line block ×5, first 2 shown]
	global_load_b32 v217, v47, s[8:9] offset:3584
	s_waitcnt vmcnt(6)
	v_lshrrev_b32_e32 v219, 16, v199
	s_delay_alu instid0(VALU_DEP_1) | instskip(SKIP_1) | instid1(VALU_DEP_2)
	v_mul_f16_e64 v220, v218, v219
	v_mul_f16_e64 v219, v200, v219
	v_fma_f16 v220, v200, v199, -v220
	s_delay_alu instid0(VALU_DEP_2)
	v_fmac_f16_e64 v219, v218, v199
	global_load_b32 v218, v47, s[8:9] offset:4032
	v_add_nc_u32_e32 v47, 0xc00, v58
	ds_load_2addr_b32 v[199:200], v47 offset0:128 offset1:240
	s_waitcnt lgkmcnt(0)
	v_lshrrev_b32_e32 v222, 16, v200
	s_waitcnt vmcnt(0)
	v_lshrrev_b32_e32 v221, 16, v218
	s_delay_alu instid0(VALU_DEP_1) | instskip(NEXT) | instid1(VALU_DEP_3)
	v_mul_f16_e64 v223, v200, v221
	v_mul_f16_e64 v221, v222, v221
	s_delay_alu instid0(VALU_DEP_2) | instskip(NEXT) | instid1(VALU_DEP_2)
	v_fmac_f16_e64 v223, v222, v218
	v_fma_f16 v218, v200, v218, -v221
	v_lshrrev_b32_e32 v200, 16, v199
	v_lshrrev_b32_e32 v221, 16, v217
	s_delay_alu instid0(VALU_DEP_1) | instskip(SKIP_1) | instid1(VALU_DEP_2)
	v_mul_f16_e64 v222, v200, v221
	v_mul_f16_e64 v221, v199, v221
	v_fma_f16 v222, v199, v217, -v222
	v_pack_b32_f16 v199, v205, v204
	s_delay_alu instid0(VALU_DEP_3)
	v_fmac_f16_e64 v221, v200, v217
	ds_store_2addr_b32 v58, v89, v199 offset1:112
	v_pack_b32_f16 v89, v196, v207
	ds_store_2addr_b32 v33, v48, v89 offset0:96 offset1:208
	v_pack_b32_f16 v48, v194, v208
	v_pack_b32_f16 v89, v210, v209
	v_lshrrev_b32_e32 v209, 16, v216
	ds_store_2addr_b32 v34, v48, v89 offset0:64 offset1:176
	v_pack_b32_f16 v48, v201, v213
	v_pack_b32_f16 v89, v220, v219
	v_lshrrev_b32_e32 v213, 16, v202
	ds_store_2addr_b32 v195, v48, v89 offset0:32 offset1:144
	v_add_nc_u32_e32 v48, 0x1000, v58
	v_lshrrev_b32_e32 v89, 16, v211
	ds_load_2addr_b32 v[199:200], v48 offset0:96 offset1:208
	s_waitcnt lgkmcnt(0)
	v_lshrrev_b32_e32 v194, 16, v199
	v_mul_f16_e64 v201, v199, v89
	s_delay_alu instid0(VALU_DEP_2) | instskip(NEXT) | instid1(VALU_DEP_2)
	v_mul_f16_e64 v89, v194, v89
	v_fmac_f16_e64 v201, v194, v211
	v_lshrrev_b32_e32 v194, 16, v212
	s_delay_alu instid0(VALU_DEP_3) | instskip(SKIP_1) | instid1(VALU_DEP_3)
	v_fma_f16 v203, v199, v211, -v89
	v_lshrrev_b32_e32 v89, 16, v200
	v_mul_f16_e64 v204, v200, v194
	s_delay_alu instid0(VALU_DEP_3) | instskip(NEXT) | instid1(VALU_DEP_3)
	v_pack_b32_f16 v201, v203, v201
	v_mul_f16_e64 v196, v89, v194
	s_delay_alu instid0(VALU_DEP_3) | instskip(SKIP_1) | instid1(VALU_DEP_3)
	v_fmac_f16_e64 v204, v89, v212
	v_lshrrev_b32_e32 v89, 16, v214
	v_fma_f16 v205, v200, v212, -v196
	v_add_nc_u32_e32 v196, 0x1400, v58
	ds_load_2addr_b32 v[199:200], v196 offset0:64 offset1:176
	s_waitcnt lgkmcnt(0)
	v_lshrrev_b32_e32 v194, 16, v199
	v_mul_f16_e64 v206, v199, v89
	s_delay_alu instid0(VALU_DEP_2) | instskip(NEXT) | instid1(VALU_DEP_2)
	v_mul_f16_e64 v89, v194, v89
	v_fmac_f16_e64 v206, v194, v214
	v_lshrrev_b32_e32 v194, 16, v215
	s_delay_alu instid0(VALU_DEP_3) | instskip(SKIP_1) | instid1(VALU_DEP_3)
	v_fma_f16 v199, v199, v214, -v89
	v_lshrrev_b32_e32 v89, 16, v200
	v_mul_f16_e64 v208, v200, v194
	s_delay_alu instid0(VALU_DEP_3) | instskip(NEXT) | instid1(VALU_DEP_3)
	v_pack_b32_f16 v199, v199, v206
	v_mul_f16_e64 v207, v89, v194
	s_delay_alu instid0(VALU_DEP_3) | instskip(SKIP_1) | instid1(VALU_DEP_3)
	v_fmac_f16_e64 v208, v89, v215
	v_add_nc_u32_e32 v194, 0x1800, v58
	v_fma_f16 v200, v200, v215, -v207
	s_clause 0x1
	global_load_b32 v89, v[197:198], off offset:2624
	global_load_b32 v207, v[197:198], off offset:3520
	ds_load_2addr_b32 v[197:198], v194 offset0:32 offset1:144
	v_pack_b32_f16 v200, v200, v208
	ds_store_2addr_b32 v196, v199, v200 offset0:64 offset1:176
	s_waitcnt lgkmcnt(1)
	v_lshrrev_b32_e32 v210, 16, v197
	v_mul_f16_e64 v211, v197, v209
	s_delay_alu instid0(VALU_DEP_2) | instskip(NEXT) | instid1(VALU_DEP_2)
	v_mul_f16_e64 v209, v210, v209
	v_fmac_f16_e64 v211, v210, v216
	s_delay_alu instid0(VALU_DEP_2) | instskip(SKIP_1) | instid1(VALU_DEP_2)
	v_fma_f16 v209, v197, v216, -v209
	v_lshrrev_b32_e32 v197, 16, v198
	v_pack_b32_f16 v199, v209, v211
	s_waitcnt vmcnt(1)
	v_lshrrev_b32_e32 v210, 16, v89
	s_delay_alu instid0(VALU_DEP_1) | instskip(SKIP_1) | instid1(VALU_DEP_2)
	v_mul_f16_e64 v212, v197, v210
	v_mul_f16_e64 v210, v198, v210
	v_fma_f16 v212, v198, v89, -v212
	s_delay_alu instid0(VALU_DEP_2) | instskip(SKIP_1) | instid1(VALU_DEP_2)
	v_fmac_f16_e64 v210, v197, v89
	v_add_nc_u32_e32 v89, 0x1c00, v58
	v_pack_b32_f16 v200, v212, v210
	ds_load_2addr_b32 v[197:198], v89 offset1:112
	ds_store_2addr_b32 v194, v199, v200 offset0:32 offset1:144
	s_waitcnt lgkmcnt(1)
	v_lshrrev_b32_e32 v214, 16, v197
	v_mul_f16_e64 v215, v197, v213
	s_delay_alu instid0(VALU_DEP_2) | instskip(NEXT) | instid1(VALU_DEP_2)
	v_mul_f16_e64 v213, v214, v213
	v_fmac_f16_e64 v215, v214, v202
	s_delay_alu instid0(VALU_DEP_2) | instskip(SKIP_3) | instid1(VALU_DEP_3)
	v_fma_f16 v197, v197, v202, -v213
	v_lshrrev_b32_e32 v202, 16, v198
	s_waitcnt vmcnt(0)
	v_lshrrev_b32_e32 v213, 16, v207
	v_pack_b32_f16 v197, v197, v215
	s_delay_alu instid0(VALU_DEP_2) | instskip(SKIP_1) | instid1(VALU_DEP_2)
	v_mul_f16_e64 v214, v202, v213
	v_mul_f16_e64 v213, v198, v213
	v_fma_f16 v198, v198, v207, -v214
	s_delay_alu instid0(VALU_DEP_2) | instskip(SKIP_2) | instid1(VALU_DEP_3)
	v_fmac_f16_e64 v213, v202, v207
	v_pack_b32_f16 v202, v218, v223
	v_pack_b32_f16 v207, v222, v221
	;; [unrolled: 1-line block ×3, first 2 shown]
	ds_store_2addr_b32 v47, v207, v202 offset0:128 offset1:240
	v_pack_b32_f16 v202, v205, v204
	ds_store_2addr_b32 v89, v197, v198 offset1:112
	ds_store_2addr_b32 v48, v201, v202 offset0:96 offset1:208
	s_waitcnt lgkmcnt(0)
	s_barrier
	buffer_gl0_inv
	ds_load_2addr_b32 v[197:198], v58 offset1:112
	ds_load_2addr_b32 v[199:200], v47 offset0:128 offset1:240
	ds_load_2addr_b32 v[202:203], v48 offset0:96 offset1:208
	;; [unrolled: 1-line block ×7, first 2 shown]
	ds_load_2addr_b32 v[214:215], v89 offset1:112
	s_waitcnt lgkmcnt(0)
	s_barrier
	buffer_gl0_inv
	v_pk_add_f16 v201, v197, v200 neg_lo:[0,1] neg_hi:[0,1]
	s_delay_alu instid0(VALU_DEP_1) | instskip(SKIP_2) | instid1(VALU_DEP_1)
	v_pk_fma_f16 v200, v197, 2.0, v201 op_sel_hi:[1,0,1] neg_lo:[0,0,1] neg_hi:[0,0,1]
	ds_store_b64 v91, v[200:201]
	v_pk_add_f16 v201, v198, v202 neg_lo:[0,1] neg_hi:[0,1]
	v_pk_fma_f16 v200, v198, 2.0, v201 op_sel_hi:[1,0,1] neg_lo:[0,0,1] neg_hi:[0,0,1]
	v_pk_add_f16 v198, v204, v203 neg_lo:[0,1] neg_hi:[0,1]
	ds_store_b64 v93, v[200:201]
	v_pk_fma_f16 v197, v204, 2.0, v198 op_sel_hi:[1,0,1] neg_lo:[0,0,1] neg_hi:[0,0,1]
	ds_store_b64 v92, v[197:198]
	v_pk_add_f16 v92, v205, v206 neg_lo:[0,1] neg_hi:[0,1]
	s_delay_alu instid0(VALU_DEP_1) | instskip(SKIP_2) | instid1(VALU_DEP_1)
	v_pk_fma_f16 v91, v205, 2.0, v92 op_sel_hi:[1,0,1] neg_lo:[0,0,1] neg_hi:[0,0,1]
	ds_store_b64 v97, v[91:92]
	v_pk_add_f16 v92, v208, v207 neg_lo:[0,1] neg_hi:[0,1]
	v_pk_fma_f16 v91, v208, 2.0, v92 op_sel_hi:[1,0,1] neg_lo:[0,0,1] neg_hi:[0,0,1]
	ds_store_b64 v96, v[91:92]
	v_pk_add_f16 v92, v209, v210 neg_lo:[0,1] neg_hi:[0,1]
	s_delay_alu instid0(VALU_DEP_1) | instskip(SKIP_2) | instid1(VALU_DEP_1)
	v_pk_fma_f16 v91, v209, 2.0, v92 op_sel_hi:[1,0,1] neg_lo:[0,0,1] neg_hi:[0,0,1]
	ds_store_b64 v94, v[91:92]
	v_pk_add_f16 v92, v212, v211 neg_lo:[0,1] neg_hi:[0,1]
	;; [unrolled: 7-line block ×3, first 2 shown]
	v_pk_fma_f16 v91, v199, 2.0, v92 op_sel_hi:[1,0,1] neg_lo:[0,0,1] neg_hi:[0,0,1]
	ds_store_b64 v95, v[91:92]
	s_waitcnt lgkmcnt(0)
	s_barrier
	buffer_gl0_inv
	ds_load_2addr_b32 v[91:92], v47 offset0:128 offset1:240
	s_waitcnt lgkmcnt(0)
	v_lshrrev_b32_e32 v93, 16, v92
	v_mul_f16_e64 v94, v149, v92
	s_delay_alu instid0(VALU_DEP_2) | instskip(NEXT) | instid1(VALU_DEP_2)
	v_mul_f16_e64 v95, v149, v93
	v_fma_f16 v94, v90, v93, -v94
	s_delay_alu instid0(VALU_DEP_2) | instskip(SKIP_4) | instid1(VALU_DEP_2)
	v_fmac_f16_e32 v95, v90, v92
	ds_load_2addr_b32 v[92:93], v58 offset1:112
	s_waitcnt lgkmcnt(0)
	v_lshrrev_b32_e32 v96, 16, v92
	v_sub_f16_e32 v95, v92, v95
	v_sub_f16_e32 v94, v96, v94
	s_delay_alu instid0(VALU_DEP_2) | instskip(NEXT) | instid1(VALU_DEP_2)
	v_fma_f16 v92, v92, 2.0, -v95
	v_fma_f16 v96, v96, 2.0, -v94
	v_pack_b32_f16 v205, v95, v94
	s_delay_alu instid0(VALU_DEP_2)
	v_pack_b32_f16 v92, v92, v96
	ds_load_2addr_b32 v[94:95], v48 offset0:96 offset1:208
	ds_load_2addr_b32 v[96:97], v33 offset0:96 offset1:208
	;; [unrolled: 1-line block ×6, first 2 shown]
	ds_load_2addr_b32 v[203:204], v89 offset1:112
	s_waitcnt lgkmcnt(0)
	s_barrier
	buffer_gl0_inv
	ds_store_2addr_b32 v163, v92, v205 offset1:2
	v_lshrrev_b32_e32 v92, 16, v94
	v_mul_f16_e64 v163, v149, v94
	s_delay_alu instid0(VALU_DEP_1) | instskip(SKIP_1) | instid1(VALU_DEP_1)
	v_fma_f16 v163, v90, v92, -v163
	v_mul_f16_e64 v92, v149, v92
	v_fmac_f16_e32 v92, v90, v94
	v_lshrrev_b32_e32 v94, 16, v93
	s_delay_alu instid0(VALU_DEP_2) | instskip(NEXT) | instid1(VALU_DEP_2)
	v_sub_f16_e32 v92, v93, v92
	v_sub_f16_e64 v163, v94, v163
	s_delay_alu instid0(VALU_DEP_2) | instskip(NEXT) | instid1(VALU_DEP_2)
	v_fma_f16 v93, v93, 2.0, -v92
	v_fma_f16 v94, v94, 2.0, -v163
	v_pack_b32_f16 v92, v92, v163
	s_delay_alu instid0(VALU_DEP_2) | instskip(SKIP_3) | instid1(VALU_DEP_1)
	v_pack_b32_f16 v93, v93, v94
	v_mul_f16_e64 v94, v149, v95
	ds_store_2addr_b32 v162, v93, v92 offset1:2
	v_lshrrev_b32_e32 v92, 16, v95
	v_mul_f16_e64 v93, v149, v92
	v_fma_f16 v92, v90, v92, -v94
	v_lshrrev_b32_e32 v94, 16, v96
	s_delay_alu instid0(VALU_DEP_3) | instskip(NEXT) | instid1(VALU_DEP_2)
	v_fmac_f16_e32 v93, v90, v95
	v_sub_f16_e32 v92, v94, v92
	s_delay_alu instid0(VALU_DEP_2) | instskip(NEXT) | instid1(VALU_DEP_2)
	v_sub_f16_e32 v93, v96, v93
	v_fma_f16 v94, v94, 2.0, -v92
	s_delay_alu instid0(VALU_DEP_2) | instskip(SKIP_1) | instid1(VALU_DEP_1)
	v_pack_b32_f16 v92, v93, v92
	v_fma_f16 v93, v96, 2.0, -v93
	v_pack_b32_f16 v93, v93, v94
	v_lshrrev_b32_e32 v94, 16, v97
	ds_store_2addr_b32 v161, v93, v92 offset1:2
	v_lshrrev_b32_e32 v92, 16, v98
	v_mul_f16_e64 v93, v149, v98
	s_delay_alu instid0(VALU_DEP_1) | instskip(SKIP_1) | instid1(VALU_DEP_2)
	v_fma_f16 v93, v90, v92, -v93
	v_mul_f16_e64 v92, v149, v92
	v_sub_f16_e32 v93, v94, v93
	s_delay_alu instid0(VALU_DEP_2) | instskip(NEXT) | instid1(VALU_DEP_2)
	v_fmac_f16_e32 v92, v90, v98
	v_fma_f16 v94, v94, 2.0, -v93
	s_delay_alu instid0(VALU_DEP_2) | instskip(NEXT) | instid1(VALU_DEP_1)
	v_sub_f16_e32 v92, v97, v92
	v_fma_f16 v95, v97, 2.0, -v92
	v_pack_b32_f16 v92, v92, v93
	s_delay_alu instid0(VALU_DEP_2) | instskip(SKIP_3) | instid1(VALU_DEP_1)
	v_pack_b32_f16 v93, v95, v94
	v_mul_f16_e64 v94, v149, v99
	ds_store_2addr_b32 v159, v93, v92 offset1:2
	v_lshrrev_b32_e32 v92, 16, v99
	v_mul_f16_e64 v93, v149, v92
	v_fma_f16 v92, v90, v92, -v94
	v_lshrrev_b32_e32 v94, 16, v197
	s_delay_alu instid0(VALU_DEP_3) | instskip(NEXT) | instid1(VALU_DEP_2)
	v_fmac_f16_e32 v93, v90, v99
	v_sub_f16_e32 v92, v94, v92
	s_delay_alu instid0(VALU_DEP_2) | instskip(NEXT) | instid1(VALU_DEP_2)
	v_sub_f16_e64 v93, v197, v93
	v_fma_f16 v94, v94, 2.0, -v92
	s_delay_alu instid0(VALU_DEP_2) | instskip(SKIP_1) | instid1(VALU_DEP_1)
	v_pack_b32_f16 v92, v93, v92
	v_fma_f16 v93, v197, 2.0, -v93
	v_pack_b32_f16 v93, v93, v94
	v_lshrrev_b32_e32 v94, 16, v198
	ds_store_2addr_b32 v155, v93, v92 offset1:2
	v_lshrrev_b32_e32 v92, 16, v199
	v_mul_f16_e64 v93, v149, v199
	s_delay_alu instid0(VALU_DEP_1) | instskip(SKIP_1) | instid1(VALU_DEP_2)
	v_fma_f16 v93, v90, v92, -v93
	v_mul_f16_e64 v92, v149, v92
	v_sub_f16_e32 v93, v94, v93
	s_delay_alu instid0(VALU_DEP_2) | instskip(NEXT) | instid1(VALU_DEP_2)
	v_fmac_f16_e64 v92, v90, v199
	v_fma_f16 v94, v94, 2.0, -v93
	s_delay_alu instid0(VALU_DEP_2) | instskip(NEXT) | instid1(VALU_DEP_1)
	v_sub_f16_e64 v92, v198, v92
	v_fma_f16 v95, v198, 2.0, -v92
	v_pack_b32_f16 v92, v92, v93
	s_delay_alu instid0(VALU_DEP_2) | instskip(SKIP_3) | instid1(VALU_DEP_1)
	v_pack_b32_f16 v93, v95, v94
	v_mul_f16_e64 v94, v149, v200
	ds_store_2addr_b32 v150, v93, v92 offset1:2
	v_lshrrev_b32_e32 v92, 16, v200
	v_mul_f16_e64 v93, v149, v92
	v_fma_f16 v92, v90, v92, -v94
	v_lshrrev_b32_e32 v94, 16, v201
	s_delay_alu instid0(VALU_DEP_3) | instskip(NEXT) | instid1(VALU_DEP_2)
	v_fmac_f16_e64 v93, v90, v200
	v_sub_f16_e32 v92, v94, v92
	s_delay_alu instid0(VALU_DEP_2) | instskip(NEXT) | instid1(VALU_DEP_2)
	v_sub_f16_e64 v93, v201, v93
	v_fma_f16 v94, v94, 2.0, -v92
	s_delay_alu instid0(VALU_DEP_2) | instskip(SKIP_1) | instid1(VALU_DEP_1)
	v_pack_b32_f16 v92, v93, v92
	v_fma_f16 v93, v201, 2.0, -v93
	v_pack_b32_f16 v93, v93, v94
	v_lshrrev_b32_e32 v94, 16, v202
	ds_store_2addr_b32 v141, v93, v92 offset1:2
	v_lshrrev_b32_e32 v92, 16, v203
	v_mul_f16_e64 v93, v149, v203
	s_delay_alu instid0(VALU_DEP_1) | instskip(SKIP_1) | instid1(VALU_DEP_2)
	v_fma_f16 v93, v90, v92, -v93
	v_mul_f16_e64 v92, v149, v92
	v_sub_f16_e32 v93, v94, v93
	s_delay_alu instid0(VALU_DEP_2) | instskip(NEXT) | instid1(VALU_DEP_2)
	v_fmac_f16_e64 v92, v90, v203
	v_fma_f16 v94, v94, 2.0, -v93
	s_delay_alu instid0(VALU_DEP_2) | instskip(NEXT) | instid1(VALU_DEP_1)
	v_sub_f16_e64 v92, v202, v92
	v_fma_f16 v95, v202, 2.0, -v92
	v_pack_b32_f16 v92, v92, v93
	s_delay_alu instid0(VALU_DEP_2) | instskip(SKIP_3) | instid1(VALU_DEP_1)
	v_pack_b32_f16 v93, v95, v94
	v_mul_f16_e64 v94, v149, v204
	ds_store_2addr_b32 v137, v93, v92 offset1:2
	v_lshrrev_b32_e32 v92, 16, v204
	v_mul_f16_e64 v93, v149, v92
	s_delay_alu instid0(VALU_DEP_1) | instskip(SKIP_1) | instid1(VALU_DEP_2)
	v_fmac_f16_e64 v93, v90, v204
	v_fma_f16 v90, v90, v92, -v94
	v_sub_f16_e32 v92, v91, v93
	v_lshrrev_b32_e32 v93, 16, v91
	s_delay_alu instid0(VALU_DEP_2) | instskip(NEXT) | instid1(VALU_DEP_2)
	v_fma_f16 v91, v91, 2.0, -v92
	v_sub_f16_e32 v90, v93, v90
	s_delay_alu instid0(VALU_DEP_1) | instskip(SKIP_1) | instid1(VALU_DEP_2)
	v_fma_f16 v93, v93, 2.0, -v90
	v_pack_b32_f16 v90, v92, v90
	v_pack_b32_f16 v91, v91, v93
	ds_store_2addr_b32 v133, v91, v90 offset1:2
	s_waitcnt lgkmcnt(0)
	s_barrier
	buffer_gl0_inv
	ds_load_2addr_b32 v[90:91], v47 offset0:128 offset1:240
	s_waitcnt lgkmcnt(0)
	v_lshrrev_b32_e32 v92, 16, v91
	v_mul_f16_e32 v93, v124, v91
	s_delay_alu instid0(VALU_DEP_2) | instskip(NEXT) | instid1(VALU_DEP_2)
	v_mul_f16_e32 v94, v124, v92
	v_fma_f16 v93, v103, v92, -v93
	s_delay_alu instid0(VALU_DEP_2) | instskip(SKIP_4) | instid1(VALU_DEP_2)
	v_fmac_f16_e32 v94, v103, v91
	ds_load_2addr_b32 v[91:92], v58 offset1:112
	s_waitcnt lgkmcnt(0)
	v_lshrrev_b32_e32 v95, 16, v91
	v_sub_f16_e32 v94, v91, v94
	v_sub_f16_e32 v93, v95, v93
	s_delay_alu instid0(VALU_DEP_2) | instskip(NEXT) | instid1(VALU_DEP_2)
	v_fma_f16 v91, v91, 2.0, -v94
	v_fma_f16 v95, v95, 2.0, -v93
	v_pack_b32_f16 v99, v94, v93
	s_delay_alu instid0(VALU_DEP_2)
	v_pack_b32_f16 v91, v91, v95
	ds_load_2addr_b32 v[93:94], v48 offset0:96 offset1:208
	ds_load_2addr_b32 v[95:96], v33 offset0:96 offset1:208
	;; [unrolled: 1-line block ×6, first 2 shown]
	ds_load_2addr_b32 v[199:200], v89 offset1:112
	s_waitcnt lgkmcnt(0)
	s_barrier
	buffer_gl0_inv
	ds_store_2addr_b32 v145, v91, v99 offset1:4
	v_lshrrev_b32_e32 v91, 16, v93
	v_mul_f16_e32 v99, v124, v93
	s_delay_alu instid0(VALU_DEP_1) | instskip(SKIP_1) | instid1(VALU_DEP_1)
	v_fma_f16 v99, v103, v91, -v99
	v_mul_f16_e32 v91, v124, v91
	v_fmac_f16_e32 v91, v103, v93
	v_lshrrev_b32_e32 v93, 16, v92
	s_delay_alu instid0(VALU_DEP_2) | instskip(NEXT) | instid1(VALU_DEP_2)
	v_sub_f16_e32 v91, v92, v91
	v_sub_f16_e32 v99, v93, v99
	s_delay_alu instid0(VALU_DEP_2) | instskip(NEXT) | instid1(VALU_DEP_2)
	v_fma_f16 v92, v92, 2.0, -v91
	v_fma_f16 v93, v93, 2.0, -v99
	v_pack_b32_f16 v91, v91, v99
	s_delay_alu instid0(VALU_DEP_2) | instskip(SKIP_3) | instid1(VALU_DEP_1)
	v_pack_b32_f16 v92, v92, v93
	v_mul_f16_e32 v93, v124, v94
	ds_store_2addr_b32 v144, v92, v91 offset1:4
	v_lshrrev_b32_e32 v91, 16, v94
	v_mul_f16_e32 v92, v124, v91
	v_fma_f16 v91, v103, v91, -v93
	v_lshrrev_b32_e32 v93, 16, v95
	s_delay_alu instid0(VALU_DEP_3) | instskip(NEXT) | instid1(VALU_DEP_2)
	v_fmac_f16_e32 v92, v103, v94
	v_sub_f16_e32 v91, v93, v91
	s_delay_alu instid0(VALU_DEP_2) | instskip(NEXT) | instid1(VALU_DEP_2)
	v_sub_f16_e32 v92, v95, v92
	v_fma_f16 v93, v93, 2.0, -v91
	s_delay_alu instid0(VALU_DEP_2) | instskip(SKIP_1) | instid1(VALU_DEP_1)
	v_pack_b32_f16 v91, v92, v91
	v_fma_f16 v92, v95, 2.0, -v92
	v_pack_b32_f16 v92, v92, v93
	v_lshrrev_b32_e32 v93, 16, v96
	ds_store_2addr_b32 v139, v92, v91 offset1:4
	v_lshrrev_b32_e32 v91, 16, v97
	v_mul_f16_e32 v92, v124, v97
	s_delay_alu instid0(VALU_DEP_1) | instskip(SKIP_1) | instid1(VALU_DEP_2)
	v_fma_f16 v92, v103, v91, -v92
	v_mul_f16_e32 v91, v124, v91
	v_sub_f16_e32 v92, v93, v92
	s_delay_alu instid0(VALU_DEP_2) | instskip(NEXT) | instid1(VALU_DEP_2)
	v_fmac_f16_e32 v91, v103, v97
	v_fma_f16 v93, v93, 2.0, -v92
	s_delay_alu instid0(VALU_DEP_2) | instskip(NEXT) | instid1(VALU_DEP_1)
	v_sub_f16_e32 v91, v96, v91
	v_fma_f16 v94, v96, 2.0, -v91
	v_pack_b32_f16 v91, v91, v92
	s_delay_alu instid0(VALU_DEP_2) | instskip(SKIP_3) | instid1(VALU_DEP_1)
	v_pack_b32_f16 v92, v94, v93
	v_mul_f16_e32 v93, v124, v98
	ds_store_2addr_b32 v136, v92, v91 offset1:4
	v_lshrrev_b32_e32 v91, 16, v98
	v_mul_f16_e32 v92, v124, v91
	v_fma_f16 v91, v103, v91, -v93
	v_lshrrev_b32_e32 v93, 16, v149
	s_delay_alu instid0(VALU_DEP_3) | instskip(NEXT) | instid1(VALU_DEP_2)
	v_fmac_f16_e32 v92, v103, v98
	v_sub_f16_e32 v91, v93, v91
	s_delay_alu instid0(VALU_DEP_2) | instskip(NEXT) | instid1(VALU_DEP_2)
	v_sub_f16_e64 v92, v149, v92
	v_fma_f16 v93, v93, 2.0, -v91
	s_delay_alu instid0(VALU_DEP_2) | instskip(SKIP_1) | instid1(VALU_DEP_1)
	v_pack_b32_f16 v91, v92, v91
	v_fma_f16 v92, v149, 2.0, -v92
	v_pack_b32_f16 v92, v92, v93
	v_lshrrev_b32_e32 v93, 16, v150
	ds_store_2addr_b32 v130, v92, v91 offset1:4
	v_lshrrev_b32_e32 v91, 16, v161
	v_mul_f16_e64 v92, v124, v161
	s_delay_alu instid0(VALU_DEP_1) | instskip(SKIP_1) | instid1(VALU_DEP_2)
	v_fma_f16 v92, v103, v91, -v92
	v_mul_f16_e32 v91, v124, v91
	v_sub_f16_e32 v92, v93, v92
	s_delay_alu instid0(VALU_DEP_2) | instskip(NEXT) | instid1(VALU_DEP_2)
	v_fmac_f16_e64 v91, v103, v161
	v_fma_f16 v93, v93, 2.0, -v92
	s_delay_alu instid0(VALU_DEP_2) | instskip(NEXT) | instid1(VALU_DEP_1)
	v_sub_f16_e64 v91, v150, v91
	v_fma_f16 v94, v150, 2.0, -v91
	v_pack_b32_f16 v91, v91, v92
	s_delay_alu instid0(VALU_DEP_2) | instskip(SKIP_3) | instid1(VALU_DEP_1)
	v_pack_b32_f16 v92, v94, v93
	v_mul_f16_e64 v93, v124, v162
	ds_store_2addr_b32 v127, v92, v91 offset1:4
	v_lshrrev_b32_e32 v91, 16, v162
	v_mul_f16_e32 v92, v124, v91
	v_fma_f16 v91, v103, v91, -v93
	v_lshrrev_b32_e32 v93, 16, v197
	s_delay_alu instid0(VALU_DEP_3) | instskip(NEXT) | instid1(VALU_DEP_2)
	v_fmac_f16_e64 v92, v103, v162
	v_sub_f16_e32 v91, v93, v91
	s_delay_alu instid0(VALU_DEP_2) | instskip(NEXT) | instid1(VALU_DEP_2)
	v_sub_f16_e64 v92, v197, v92
	v_fma_f16 v93, v93, 2.0, -v91
	s_delay_alu instid0(VALU_DEP_2) | instskip(SKIP_1) | instid1(VALU_DEP_1)
	v_pack_b32_f16 v91, v92, v91
	v_fma_f16 v92, v197, 2.0, -v92
	v_pack_b32_f16 v92, v92, v93
	v_lshrrev_b32_e32 v93, 16, v198
	ds_store_2addr_b32 v121, v92, v91 offset1:4
	v_lshrrev_b32_e32 v91, 16, v199
	v_mul_f16_e64 v92, v124, v199
	s_delay_alu instid0(VALU_DEP_1) | instskip(SKIP_1) | instid1(VALU_DEP_2)
	v_fma_f16 v92, v103, v91, -v92
	v_mul_f16_e32 v91, v124, v91
	v_sub_f16_e32 v92, v93, v92
	s_delay_alu instid0(VALU_DEP_2) | instskip(NEXT) | instid1(VALU_DEP_2)
	v_fmac_f16_e64 v91, v103, v199
	v_fma_f16 v93, v93, 2.0, -v92
	s_delay_alu instid0(VALU_DEP_2) | instskip(NEXT) | instid1(VALU_DEP_1)
	v_sub_f16_e64 v91, v198, v91
	v_fma_f16 v94, v198, 2.0, -v91
	v_pack_b32_f16 v91, v91, v92
	s_delay_alu instid0(VALU_DEP_2) | instskip(SKIP_3) | instid1(VALU_DEP_1)
	v_pack_b32_f16 v92, v94, v93
	v_mul_f16_e64 v93, v124, v200
	ds_store_2addr_b32 v116, v92, v91 offset1:4
	v_lshrrev_b32_e32 v91, 16, v200
	v_mul_f16_e32 v92, v124, v91
	v_fma_f16 v91, v103, v91, -v93
	v_lshrrev_b32_e32 v93, 16, v90
	s_delay_alu instid0(VALU_DEP_3) | instskip(NEXT) | instid1(VALU_DEP_2)
	v_fmac_f16_e64 v92, v103, v200
	v_sub_f16_e32 v91, v93, v91
	s_delay_alu instid0(VALU_DEP_2) | instskip(NEXT) | instid1(VALU_DEP_2)
	v_sub_f16_e32 v92, v90, v92
	v_fma_f16 v93, v93, 2.0, -v91
	s_delay_alu instid0(VALU_DEP_2) | instskip(SKIP_1) | instid1(VALU_DEP_2)
	v_fma_f16 v90, v90, 2.0, -v92
	v_pack_b32_f16 v91, v92, v91
	v_pack_b32_f16 v90, v90, v93
	ds_store_2addr_b32 v114, v90, v91 offset1:4
	s_waitcnt lgkmcnt(0)
	s_barrier
	buffer_gl0_inv
	ds_load_2addr_b32 v[90:91], v47 offset0:128 offset1:240
	s_waitcnt lgkmcnt(0)
	v_lshrrev_b32_e32 v92, 16, v91
	v_mul_f16_e32 v93, v123, v91
	s_delay_alu instid0(VALU_DEP_2) | instskip(NEXT) | instid1(VALU_DEP_2)
	v_mul_f16_e32 v94, v123, v92
	v_fma_f16 v93, v102, v92, -v93
	s_delay_alu instid0(VALU_DEP_2) | instskip(SKIP_4) | instid1(VALU_DEP_2)
	v_fmac_f16_e32 v94, v102, v91
	ds_load_2addr_b32 v[91:92], v58 offset1:112
	s_waitcnt lgkmcnt(0)
	v_lshrrev_b32_e32 v95, 16, v91
	v_sub_f16_e32 v94, v91, v94
	v_sub_f16_e32 v93, v95, v93
	s_delay_alu instid0(VALU_DEP_2) | instskip(NEXT) | instid1(VALU_DEP_2)
	v_fma_f16 v91, v91, 2.0, -v94
	v_fma_f16 v95, v95, 2.0, -v93
	v_pack_b32_f16 v99, v94, v93
	s_delay_alu instid0(VALU_DEP_2)
	v_pack_b32_f16 v91, v91, v95
	ds_load_2addr_b32 v[93:94], v48 offset0:96 offset1:208
	ds_load_2addr_b32 v[95:96], v33 offset0:96 offset1:208
	;; [unrolled: 1-line block ×6, first 2 shown]
	ds_load_2addr_b32 v[161:162], v89 offset1:112
	s_waitcnt lgkmcnt(0)
	s_barrier
	buffer_gl0_inv
	ds_store_2addr_b32 v152, v91, v99 offset1:8
	v_lshrrev_b32_e32 v91, 16, v93
	v_mul_f16_e32 v99, v123, v93
	s_delay_alu instid0(VALU_DEP_1) | instskip(SKIP_1) | instid1(VALU_DEP_1)
	v_fma_f16 v99, v102, v91, -v99
	v_mul_f16_e32 v91, v123, v91
	v_fmac_f16_e32 v91, v102, v93
	v_lshrrev_b32_e32 v93, 16, v92
	s_delay_alu instid0(VALU_DEP_2) | instskip(NEXT) | instid1(VALU_DEP_2)
	v_sub_f16_e32 v91, v92, v91
	v_sub_f16_e32 v99, v93, v99
	s_delay_alu instid0(VALU_DEP_2) | instskip(NEXT) | instid1(VALU_DEP_2)
	v_fma_f16 v92, v92, 2.0, -v91
	v_fma_f16 v93, v93, 2.0, -v99
	v_pack_b32_f16 v91, v91, v99
	s_delay_alu instid0(VALU_DEP_2) | instskip(SKIP_3) | instid1(VALU_DEP_1)
	v_pack_b32_f16 v92, v92, v93
	v_mul_f16_e32 v93, v123, v94
	ds_store_2addr_b32 v151, v92, v91 offset1:8
	v_lshrrev_b32_e32 v91, 16, v94
	v_mul_f16_e32 v92, v123, v91
	v_fma_f16 v91, v102, v91, -v93
	v_lshrrev_b32_e32 v93, 16, v95
	s_delay_alu instid0(VALU_DEP_3) | instskip(NEXT) | instid1(VALU_DEP_2)
	v_fmac_f16_e32 v92, v102, v94
	v_sub_f16_e32 v91, v93, v91
	s_delay_alu instid0(VALU_DEP_2) | instskip(NEXT) | instid1(VALU_DEP_2)
	v_sub_f16_e32 v92, v95, v92
	v_fma_f16 v93, v93, 2.0, -v91
	s_delay_alu instid0(VALU_DEP_2) | instskip(SKIP_2) | instid1(VALU_DEP_3)
	v_fma_f16 v94, v95, 2.0, -v92
	v_pack_b32_f16 v91, v92, v91
	v_mul_f16_e32 v92, v123, v97
	v_pack_b32_f16 v93, v94, v93
	ds_store_2addr_b32 v142, v93, v91 offset1:8
	v_lshrrev_b32_e32 v91, 16, v97
	v_lshrrev_b32_e32 v93, 16, v96
	s_delay_alu instid0(VALU_DEP_2) | instskip(SKIP_1) | instid1(VALU_DEP_2)
	v_fma_f16 v92, v102, v91, -v92
	v_mul_f16_e32 v91, v123, v91
	v_sub_f16_e32 v92, v93, v92
	s_delay_alu instid0(VALU_DEP_2) | instskip(NEXT) | instid1(VALU_DEP_2)
	v_fmac_f16_e32 v91, v102, v97
	v_fma_f16 v93, v93, 2.0, -v92
	s_delay_alu instid0(VALU_DEP_2) | instskip(NEXT) | instid1(VALU_DEP_1)
	v_sub_f16_e32 v91, v96, v91
	v_fma_f16 v94, v96, 2.0, -v91
	v_pack_b32_f16 v91, v91, v92
	s_delay_alu instid0(VALU_DEP_2) | instskip(SKIP_3) | instid1(VALU_DEP_2)
	v_pack_b32_f16 v93, v94, v93
	ds_store_2addr_b32 v138, v93, v91 offset1:8
	v_lshrrev_b32_e32 v91, 16, v98
	v_mul_f16_e32 v93, v123, v98
	v_mul_f16_e32 v92, v123, v91
	s_delay_alu instid0(VALU_DEP_2) | instskip(SKIP_1) | instid1(VALU_DEP_3)
	v_fma_f16 v91, v102, v91, -v93
	v_lshrrev_b32_e32 v93, 16, v136
	v_fmac_f16_e32 v92, v102, v98
	s_delay_alu instid0(VALU_DEP_2) | instskip(NEXT) | instid1(VALU_DEP_2)
	v_sub_f16_e32 v91, v93, v91
	v_sub_f16_e64 v92, v136, v92
	s_delay_alu instid0(VALU_DEP_2) | instskip(NEXT) | instid1(VALU_DEP_2)
	v_fma_f16 v93, v93, 2.0, -v91
	v_fma_f16 v94, v136, 2.0, -v92
	v_pack_b32_f16 v91, v92, v91
	v_mul_f16_e64 v92, v123, v144
	s_delay_alu instid0(VALU_DEP_3) | instskip(SKIP_3) | instid1(VALU_DEP_2)
	v_pack_b32_f16 v93, v94, v93
	ds_store_2addr_b32 v129, v93, v91 offset1:8
	v_lshrrev_b32_e32 v91, 16, v144
	v_lshrrev_b32_e32 v93, 16, v137
	v_fma_f16 v92, v102, v91, -v92
	v_mul_f16_e32 v91, v123, v91
	s_delay_alu instid0(VALU_DEP_2) | instskip(NEXT) | instid1(VALU_DEP_2)
	v_sub_f16_e32 v92, v93, v92
	v_fmac_f16_e64 v91, v102, v144
	s_delay_alu instid0(VALU_DEP_2) | instskip(NEXT) | instid1(VALU_DEP_2)
	v_fma_f16 v93, v93, 2.0, -v92
	v_sub_f16_e64 v91, v137, v91
	s_delay_alu instid0(VALU_DEP_1) | instskip(SKIP_1) | instid1(VALU_DEP_2)
	v_fma_f16 v94, v137, 2.0, -v91
	v_pack_b32_f16 v91, v91, v92
	v_pack_b32_f16 v93, v94, v93
	ds_store_2addr_b32 v125, v93, v91 offset1:8
	v_lshrrev_b32_e32 v91, 16, v145
	v_mul_f16_e64 v93, v123, v145
	s_delay_alu instid0(VALU_DEP_2) | instskip(NEXT) | instid1(VALU_DEP_2)
	v_mul_f16_e32 v92, v123, v91
	v_fma_f16 v91, v102, v91, -v93
	v_lshrrev_b32_e32 v93, 16, v149
	s_delay_alu instid0(VALU_DEP_3) | instskip(NEXT) | instid1(VALU_DEP_2)
	v_fmac_f16_e64 v92, v102, v145
	v_sub_f16_e32 v91, v93, v91
	s_delay_alu instid0(VALU_DEP_2) | instskip(NEXT) | instid1(VALU_DEP_2)
	v_sub_f16_e64 v92, v149, v92
	v_fma_f16 v93, v93, 2.0, -v91
	s_delay_alu instid0(VALU_DEP_2) | instskip(SKIP_2) | instid1(VALU_DEP_3)
	v_fma_f16 v94, v149, 2.0, -v92
	v_pack_b32_f16 v91, v92, v91
	v_mul_f16_e64 v92, v123, v161
	v_pack_b32_f16 v93, v94, v93
	ds_store_2addr_b32 v120, v93, v91 offset1:8
	v_lshrrev_b32_e32 v91, 16, v161
	v_lshrrev_b32_e32 v93, 16, v150
	s_delay_alu instid0(VALU_DEP_2) | instskip(SKIP_1) | instid1(VALU_DEP_2)
	v_fma_f16 v92, v102, v91, -v92
	v_mul_f16_e32 v91, v123, v91
	v_sub_f16_e32 v92, v93, v92
	s_delay_alu instid0(VALU_DEP_2) | instskip(NEXT) | instid1(VALU_DEP_2)
	v_fmac_f16_e64 v91, v102, v161
	v_fma_f16 v93, v93, 2.0, -v92
	s_delay_alu instid0(VALU_DEP_2) | instskip(NEXT) | instid1(VALU_DEP_1)
	v_sub_f16_e64 v91, v150, v91
	v_fma_f16 v94, v150, 2.0, -v91
	v_pack_b32_f16 v91, v91, v92
	s_delay_alu instid0(VALU_DEP_2) | instskip(SKIP_3) | instid1(VALU_DEP_2)
	v_pack_b32_f16 v93, v94, v93
	ds_store_2addr_b32 v115, v93, v91 offset1:8
	v_lshrrev_b32_e32 v91, 16, v162
	v_mul_f16_e64 v93, v123, v162
	v_mul_f16_e32 v92, v123, v91
	s_delay_alu instid0(VALU_DEP_2) | instskip(SKIP_1) | instid1(VALU_DEP_3)
	v_fma_f16 v91, v102, v91, -v93
	v_lshrrev_b32_e32 v93, 16, v90
	v_fmac_f16_e64 v92, v102, v162
	s_delay_alu instid0(VALU_DEP_2) | instskip(NEXT) | instid1(VALU_DEP_2)
	v_sub_f16_e32 v91, v93, v91
	v_sub_f16_e32 v92, v90, v92
	s_delay_alu instid0(VALU_DEP_2) | instskip(NEXT) | instid1(VALU_DEP_2)
	v_fma_f16 v93, v93, 2.0, -v91
	v_fma_f16 v90, v90, 2.0, -v92
	v_pack_b32_f16 v91, v92, v91
	s_delay_alu instid0(VALU_DEP_2)
	v_pack_b32_f16 v90, v90, v93
	ds_store_2addr_b32 v113, v90, v91 offset1:8
	s_waitcnt lgkmcnt(0)
	s_barrier
	buffer_gl0_inv
	ds_load_2addr_b32 v[90:91], v47 offset0:128 offset1:240
	s_waitcnt lgkmcnt(0)
	v_lshrrev_b32_e32 v92, 16, v91
	v_mul_f16_e64 v93, v128, v91
	s_delay_alu instid0(VALU_DEP_2) | instskip(NEXT) | instid1(VALU_DEP_2)
	v_mul_f16_e64 v94, v128, v92
	v_fma_f16 v93, v101, v92, -v93
	s_delay_alu instid0(VALU_DEP_2) | instskip(SKIP_4) | instid1(VALU_DEP_2)
	v_fmac_f16_e32 v94, v101, v91
	ds_load_2addr_b32 v[91:92], v58 offset1:112
	s_waitcnt lgkmcnt(0)
	v_lshrrev_b32_e32 v95, 16, v91
	v_sub_f16_e32 v94, v91, v94
	v_sub_f16_e32 v93, v95, v93
	s_delay_alu instid0(VALU_DEP_2) | instskip(NEXT) | instid1(VALU_DEP_2)
	v_fma_f16 v91, v91, 2.0, -v94
	v_fma_f16 v95, v95, 2.0, -v93
	v_pack_b32_f16 v99, v94, v93
	s_delay_alu instid0(VALU_DEP_2)
	v_pack_b32_f16 v91, v91, v95
	ds_load_2addr_b32 v[93:94], v48 offset0:96 offset1:208
	ds_load_2addr_b32 v[95:96], v33 offset0:96 offset1:208
	ds_load_2addr_b32 v[97:98], v196 offset0:64 offset1:176
	ds_load_2addr_b32 v[102:103], v34 offset0:64 offset1:176
	ds_load_2addr_b32 v[113:114], v194 offset0:32 offset1:144
	ds_load_2addr_b32 v[115:116], v195 offset0:32 offset1:144
	ds_load_2addr_b32 v[120:121], v89 offset1:112
	s_waitcnt lgkmcnt(0)
	s_barrier
	buffer_gl0_inv
	ds_store_2addr_b32 v156, v91, v99 offset1:16
	v_lshrrev_b32_e32 v91, 16, v93
	v_mul_f16_e64 v99, v128, v93
	s_delay_alu instid0(VALU_DEP_1) | instskip(SKIP_1) | instid1(VALU_DEP_1)
	v_fma_f16 v99, v101, v91, -v99
	v_mul_f16_e64 v91, v128, v91
	v_fmac_f16_e32 v91, v101, v93
	v_lshrrev_b32_e32 v93, 16, v92
	s_delay_alu instid0(VALU_DEP_2) | instskip(NEXT) | instid1(VALU_DEP_2)
	v_sub_f16_e32 v91, v92, v91
	v_sub_f16_e32 v99, v93, v99
	s_delay_alu instid0(VALU_DEP_2) | instskip(NEXT) | instid1(VALU_DEP_2)
	v_fma_f16 v92, v92, 2.0, -v91
	v_fma_f16 v93, v93, 2.0, -v99
	v_pack_b32_f16 v91, v91, v99
	s_delay_alu instid0(VALU_DEP_2) | instskip(SKIP_3) | instid1(VALU_DEP_1)
	v_pack_b32_f16 v92, v92, v93
	v_mul_f16_e64 v93, v128, v94
	ds_store_2addr_b32 v158, v92, v91 offset1:16
	v_lshrrev_b32_e32 v91, 16, v94
	v_mul_f16_e64 v92, v128, v91
	v_fma_f16 v91, v101, v91, -v93
	v_lshrrev_b32_e32 v93, 16, v95
	s_delay_alu instid0(VALU_DEP_3) | instskip(NEXT) | instid1(VALU_DEP_2)
	v_fmac_f16_e32 v92, v101, v94
	v_sub_f16_e32 v91, v93, v91
	s_delay_alu instid0(VALU_DEP_2) | instskip(NEXT) | instid1(VALU_DEP_2)
	v_sub_f16_e32 v92, v95, v92
	v_fma_f16 v93, v93, 2.0, -v91
	s_delay_alu instid0(VALU_DEP_2) | instskip(SKIP_2) | instid1(VALU_DEP_3)
	v_fma_f16 v94, v95, 2.0, -v92
	v_pack_b32_f16 v91, v92, v91
	v_mul_f16_e64 v92, v128, v97
	v_pack_b32_f16 v93, v94, v93
	ds_store_2addr_b32 v153, v93, v91 offset1:16
	v_lshrrev_b32_e32 v91, 16, v97
	v_lshrrev_b32_e32 v93, 16, v96
	s_delay_alu instid0(VALU_DEP_2) | instskip(SKIP_1) | instid1(VALU_DEP_2)
	v_fma_f16 v92, v101, v91, -v92
	v_mul_f16_e64 v91, v128, v91
	v_sub_f16_e32 v92, v93, v92
	s_delay_alu instid0(VALU_DEP_2) | instskip(NEXT) | instid1(VALU_DEP_2)
	v_fmac_f16_e32 v91, v101, v97
	v_fma_f16 v93, v93, 2.0, -v92
	s_delay_alu instid0(VALU_DEP_2) | instskip(NEXT) | instid1(VALU_DEP_1)
	v_sub_f16_e32 v91, v96, v91
	v_fma_f16 v94, v96, 2.0, -v91
	v_pack_b32_f16 v91, v91, v92
	s_delay_alu instid0(VALU_DEP_2) | instskip(SKIP_3) | instid1(VALU_DEP_2)
	v_pack_b32_f16 v93, v94, v93
	ds_store_2addr_b32 v146, v93, v91 offset1:16
	v_lshrrev_b32_e32 v91, 16, v98
	v_mul_f16_e64 v93, v128, v98
	v_mul_f16_e64 v92, v128, v91
	s_delay_alu instid0(VALU_DEP_2) | instskip(SKIP_1) | instid1(VALU_DEP_3)
	v_fma_f16 v91, v101, v91, -v93
	v_lshrrev_b32_e32 v93, 16, v102
	v_fmac_f16_e32 v92, v101, v98
	s_delay_alu instid0(VALU_DEP_2) | instskip(NEXT) | instid1(VALU_DEP_2)
	v_sub_f16_e32 v91, v93, v91
	v_sub_f16_e32 v92, v102, v92
	s_delay_alu instid0(VALU_DEP_2) | instskip(NEXT) | instid1(VALU_DEP_2)
	v_fma_f16 v93, v93, 2.0, -v91
	v_fma_f16 v94, v102, 2.0, -v92
	v_pack_b32_f16 v91, v92, v91
	v_mul_f16_e64 v92, v128, v113
	s_delay_alu instid0(VALU_DEP_3) | instskip(SKIP_3) | instid1(VALU_DEP_2)
	v_pack_b32_f16 v93, v94, v93
	ds_store_2addr_b32 v135, v93, v91 offset1:16
	v_lshrrev_b32_e32 v91, 16, v113
	v_lshrrev_b32_e32 v93, 16, v103
	v_fma_f16 v92, v101, v91, -v92
	v_mul_f16_e64 v91, v128, v91
	s_delay_alu instid0(VALU_DEP_2) | instskip(NEXT) | instid1(VALU_DEP_2)
	v_sub_f16_e32 v92, v93, v92
	v_fmac_f16_e32 v91, v101, v113
	s_delay_alu instid0(VALU_DEP_2) | instskip(NEXT) | instid1(VALU_DEP_2)
	v_fma_f16 v93, v93, 2.0, -v92
	v_sub_f16_e32 v91, v103, v91
	s_delay_alu instid0(VALU_DEP_1) | instskip(SKIP_1) | instid1(VALU_DEP_2)
	v_fma_f16 v94, v103, 2.0, -v91
	v_pack_b32_f16 v91, v91, v92
	v_pack_b32_f16 v93, v94, v93
	ds_store_2addr_b32 v131, v93, v91 offset1:16
	v_lshrrev_b32_e32 v91, 16, v114
	v_mul_f16_e64 v93, v128, v114
	s_delay_alu instid0(VALU_DEP_2) | instskip(NEXT) | instid1(VALU_DEP_2)
	v_mul_f16_e64 v92, v128, v91
	v_fma_f16 v91, v101, v91, -v93
	v_lshrrev_b32_e32 v93, 16, v115
	s_delay_alu instid0(VALU_DEP_3) | instskip(NEXT) | instid1(VALU_DEP_2)
	v_fmac_f16_e32 v92, v101, v114
	v_sub_f16_e32 v91, v93, v91
	s_delay_alu instid0(VALU_DEP_2) | instskip(NEXT) | instid1(VALU_DEP_2)
	v_sub_f16_e32 v92, v115, v92
	v_fma_f16 v93, v93, 2.0, -v91
	s_delay_alu instid0(VALU_DEP_2) | instskip(SKIP_2) | instid1(VALU_DEP_3)
	v_fma_f16 v94, v115, 2.0, -v92
	v_pack_b32_f16 v91, v92, v91
	v_mul_f16_e64 v92, v128, v120
	v_pack_b32_f16 v93, v94, v93
	ds_store_2addr_b32 v126, v93, v91 offset1:16
	v_lshrrev_b32_e32 v91, 16, v120
	v_lshrrev_b32_e32 v93, 16, v116
	s_delay_alu instid0(VALU_DEP_2) | instskip(SKIP_1) | instid1(VALU_DEP_2)
	v_fma_f16 v92, v101, v91, -v92
	v_mul_f16_e64 v91, v128, v91
	v_sub_f16_e32 v92, v93, v92
	s_delay_alu instid0(VALU_DEP_2) | instskip(NEXT) | instid1(VALU_DEP_2)
	v_fmac_f16_e32 v91, v101, v120
	v_fma_f16 v93, v93, 2.0, -v92
	s_delay_alu instid0(VALU_DEP_2) | instskip(NEXT) | instid1(VALU_DEP_1)
	v_sub_f16_e32 v91, v116, v91
	v_fma_f16 v94, v116, 2.0, -v91
	v_pack_b32_f16 v91, v91, v92
	s_delay_alu instid0(VALU_DEP_2) | instskip(SKIP_3) | instid1(VALU_DEP_2)
	v_pack_b32_f16 v93, v94, v93
	ds_store_2addr_b32 v122, v93, v91 offset1:16
	v_lshrrev_b32_e32 v91, 16, v121
	v_mul_f16_e64 v93, v128, v121
	v_mul_f16_e64 v92, v128, v91
	s_delay_alu instid0(VALU_DEP_2) | instskip(SKIP_1) | instid1(VALU_DEP_3)
	v_fma_f16 v91, v101, v91, -v93
	v_lshrrev_b32_e32 v93, 16, v90
	v_fmac_f16_e32 v92, v101, v121
	s_delay_alu instid0(VALU_DEP_2) | instskip(NEXT) | instid1(VALU_DEP_2)
	v_sub_f16_e32 v91, v93, v91
	v_sub_f16_e32 v92, v90, v92
	s_delay_alu instid0(VALU_DEP_2) | instskip(NEXT) | instid1(VALU_DEP_2)
	v_fma_f16 v93, v93, 2.0, -v91
	v_fma_f16 v90, v90, 2.0, -v92
	v_pack_b32_f16 v91, v92, v91
	s_delay_alu instid0(VALU_DEP_2)
	v_pack_b32_f16 v90, v90, v93
	ds_store_2addr_b32 v117, v90, v91 offset1:16
	s_waitcnt lgkmcnt(0)
	s_barrier
	buffer_gl0_inv
	ds_load_2addr_b32 v[90:91], v195 offset0:32 offset1:144
	s_waitcnt lgkmcnt(0)
	v_lshrrev_b32_e32 v92, 16, v91
	v_mul_f16_e64 v93, v189, v91
	s_delay_alu instid0(VALU_DEP_2) | instskip(NEXT) | instid1(VALU_DEP_2)
	v_mul_f16_e64 v94, v189, v92
	v_fma_f16 v95, v164, v92, -v93
	v_lshrrev_b32_e32 v92, 16, v90
	v_mul_f16_e64 v93, v174, v90
	s_delay_alu instid0(VALU_DEP_4) | instskip(NEXT) | instid1(VALU_DEP_3)
	v_fmac_f16_e64 v94, v164, v91
	v_mul_f16_e64 v96, v174, v92
	s_delay_alu instid0(VALU_DEP_3) | instskip(NEXT) | instid1(VALU_DEP_2)
	v_fma_f16 v122, v15, v92, -v93
	v_fmac_f16_e32 v96, v15, v90
	ds_load_2addr_b32 v[90:91], v196 offset0:64 offset1:176
	s_waitcnt lgkmcnt(0)
	v_lshrrev_b32_e32 v97, 16, v91
	v_mul_f16_e64 v98, v185, v91
	v_mul_f16_e64 v102, v171, v90
	s_delay_alu instid0(VALU_DEP_3) | instskip(NEXT) | instid1(VALU_DEP_3)
	v_mul_f16_e64 v99, v185, v97
	v_fma_f16 v97, v182, v97, -v98
	v_lshrrev_b32_e32 v98, 16, v90
	s_delay_alu instid0(VALU_DEP_3) | instskip(NEXT) | instid1(VALU_DEP_2)
	v_fmac_f16_e64 v99, v182, v91
	v_mul_f16_e64 v101, v171, v98
	v_fma_f16 v98, v16, v98, -v102
	s_delay_alu instid0(VALU_DEP_2)
	v_fmac_f16_e32 v101, v16, v90
	ds_load_2addr_b32 v[90:91], v47 offset0:128 offset1:240
	s_waitcnt lgkmcnt(0)
	v_lshrrev_b32_e32 v103, 16, v91
	v_mul_f16_e64 v113, v154, v91
	v_mul_f16_e64 v116, v174, v90
	s_delay_alu instid0(VALU_DEP_3) | instskip(NEXT) | instid1(VALU_DEP_3)
	v_mul_f16_e64 v114, v154, v103
	v_fma_f16 v103, v147, v103, -v113
	v_lshrrev_b32_e32 v113, 16, v90
	s_delay_alu instid0(VALU_DEP_3) | instskip(NEXT) | instid1(VALU_DEP_2)
	v_fmac_f16_e64 v114, v147, v91
	v_mul_f16_e64 v115, v174, v113
	v_fma_f16 v102, v15, v113, -v116
	s_delay_alu instid0(VALU_DEP_2) | instskip(SKIP_4) | instid1(VALU_DEP_2)
	v_fmac_f16_e32 v115, v15, v90
	ds_load_2addr_b32 v[90:91], v194 offset0:32 offset1:144
	s_waitcnt lgkmcnt(0)
	v_lshrrev_b32_e32 v117, 16, v91
	v_mul_f16_e64 v120, v143, v91
	v_mul_f16_e64 v121, v143, v117
	s_delay_alu instid0(VALU_DEP_2) | instskip(NEXT) | instid1(VALU_DEP_2)
	v_fma_f16 v117, v140, v117, -v120
	v_fmac_f16_e64 v121, v140, v91
	v_lshrrev_b32_e32 v91, 16, v90
	s_delay_alu instid0(VALU_DEP_1) | instskip(NEXT) | instid1(VALU_DEP_1)
	v_mul_f16_e64 v120, v171, v91
	v_fmac_f16_e32 v120, v16, v90
	v_mul_f16_e64 v90, v171, v90
	s_delay_alu instid0(VALU_DEP_1) | instskip(SKIP_4) | instid1(VALU_DEP_2)
	v_fma_f16 v113, v16, v91, -v90
	ds_load_2addr_b32 v[90:91], v48 offset0:96 offset1:208
	s_waitcnt lgkmcnt(0)
	v_lshrrev_b32_e32 v92, 16, v90
	v_mul_f16_e64 v93, v174, v90
	v_mul_f16_e64 v116, v174, v92
	s_delay_alu instid0(VALU_DEP_2)
	v_fma_f16 v123, v15, v92, -v93
	ds_load_2addr_b32 v[92:93], v89 offset1:112
	v_fmac_f16_e32 v116, v15, v90
	v_lshrrev_b32_e32 v15, 16, v91
	v_add_f16_e32 v90, v122, v98
	s_waitcnt lgkmcnt(0)
	v_lshrrev_b32_e32 v124, 16, v92
	v_mul_f16_e64 v125, v171, v92
	s_delay_alu instid0(VALU_DEP_2) | instskip(NEXT) | instid1(VALU_DEP_2)
	v_mul_f16_e64 v126, v171, v124
	v_fma_f16 v124, v16, v124, -v125
	v_mul_f16_e32 v125, v112, v15
	s_delay_alu instid0(VALU_DEP_3) | instskip(SKIP_1) | instid1(VALU_DEP_3)
	v_fmac_f16_e32 v126, v16, v92
	v_mul_f16_e32 v16, v112, v91
	v_fmac_f16_e32 v125, v109, v91
	v_add_f16_e32 v92, v96, v101
	s_delay_alu instid0(VALU_DEP_3) | instskip(SKIP_2) | instid1(VALU_DEP_2)
	v_fma_f16 v109, v109, v15, -v16
	v_lshrrev_b32_e32 v15, 16, v93
	v_mul_f16_e32 v16, v108, v93
	v_mul_f16_e32 v112, v108, v15
	s_delay_alu instid0(VALU_DEP_1) | instskip(NEXT) | instid1(VALU_DEP_3)
	v_fmac_f16_e32 v112, v107, v93
	v_fma_f16 v107, v107, v15, -v16
	ds_load_2addr_b32 v[15:16], v58 offset1:112
	s_waitcnt lgkmcnt(0)
	v_lshrrev_b32_e32 v108, 16, v15
	s_delay_alu instid0(VALU_DEP_1) | instskip(SKIP_2) | instid1(VALU_DEP_3)
	v_add_f16_e32 v91, v108, v122
	v_fmac_f16_e32 v108, -0.5, v90
	v_sub_f16_e32 v122, v122, v98
	v_add_f16_e32 v90, v91, v98
	v_add_f16_e32 v91, v15, v96
	v_sub_f16_e32 v96, v96, v101
	v_fma_f16 v15, -0.5, v92, v15
	s_delay_alu instid0(VALU_DEP_3) | instskip(NEXT) | instid1(VALU_DEP_1)
	v_add_f16_e32 v91, v91, v101
	v_pack_b32_f16 v98, v91, v90
	s_delay_alu instid0(VALU_DEP_3) | instskip(SKIP_4) | instid1(VALU_DEP_4)
	v_fmamk_f16 v90, v122, 0xbaee, v15
	v_fmamk_f16 v91, v96, 0x3aee, v108
	v_fmac_f16_e32 v15, 0x3aee, v122
	v_fmac_f16_e32 v108, 0xbaee, v96
	v_lshrrev_b32_e32 v96, 16, v16
	v_pack_b32_f16 v101, v90, v91
	ds_load_2addr_b32 v[90:91], v33 offset0:96 offset1:208
	ds_load_2addr_b32 v[92:93], v34 offset0:64 offset1:176
	v_pack_b32_f16 v15, v15, v108
	s_waitcnt lgkmcnt(0)
	s_barrier
	buffer_gl0_inv
	ds_store_2addr_b32 v160, v98, v101 offset1:32
	ds_store_b32 v160, v15 offset:256
	v_add_f16_e32 v15, v94, v99
	v_add_f16_e32 v98, v16, v94
	;; [unrolled: 1-line block ×3, first 2 shown]
	s_delay_alu instid0(VALU_DEP_3) | instskip(SKIP_1) | instid1(VALU_DEP_1)
	v_fmac_f16_e32 v16, -0.5, v15
	v_add_f16_e32 v15, v95, v97
	v_fmac_f16_e32 v96, -0.5, v15
	v_sub_f16_e32 v15, v95, v97
	s_delay_alu instid0(VALU_DEP_1) | instskip(SKIP_2) | instid1(VALU_DEP_1)
	v_fmamk_f16 v95, v15, 0xbaee, v16
	v_fmac_f16_e32 v16, 0x3aee, v15
	v_sub_f16_e32 v15, v94, v99
	v_fmamk_f16 v94, v15, 0x3aee, v96
	v_fmac_f16_e32 v96, 0xbaee, v15
	s_delay_alu instid0(VALU_DEP_2) | instskip(NEXT) | instid1(VALU_DEP_2)
	v_pack_b32_f16 v94, v95, v94
	v_pack_b32_f16 v15, v16, v96
	v_add_f16_e32 v16, v98, v99
	v_add_f16_e32 v96, v101, v97
	;; [unrolled: 1-line block ×3, first 2 shown]
	v_sub_f16_e32 v97, v115, v120
	v_sub_f16_e32 v98, v116, v126
	s_delay_alu instid0(VALU_DEP_4)
	v_pack_b32_f16 v16, v16, v96
	ds_store_2addr_b32 v157, v16, v94 offset1:32
	ds_store_b32 v157, v15 offset:256
	v_lshrrev_b32_e32 v15, 16, v90
	v_add_f16_e32 v16, v102, v113
	v_add_f16_e32 v96, v115, v120
	;; [unrolled: 1-line block ×3, first 2 shown]
	s_delay_alu instid0(VALU_DEP_4) | instskip(NEXT) | instid1(VALU_DEP_4)
	v_add_f16_e32 v94, v15, v102
	v_fmac_f16_e32 v15, -0.5, v16
	v_sub_f16_e32 v16, v102, v113
	v_fma_f16 v90, -0.5, v96, v90
	s_delay_alu instid0(VALU_DEP_4) | instskip(NEXT) | instid1(VALU_DEP_4)
	v_add_f16_e32 v94, v94, v113
	v_fmamk_f16 v96, v97, 0x3aee, v15
	v_fmac_f16_e32 v15, 0xbaee, v97
	s_delay_alu instid0(VALU_DEP_3) | instskip(SKIP_3) | instid1(VALU_DEP_3)
	v_pack_b32_f16 v94, v95, v94
	v_fmamk_f16 v95, v16, 0xbaee, v90
	v_fmac_f16_e32 v90, 0x3aee, v16
	v_lshrrev_b32_e32 v16, 16, v91
	v_pack_b32_f16 v95, v95, v96
	s_delay_alu instid0(VALU_DEP_3)
	v_pack_b32_f16 v15, v90, v15
	v_add_f16_e32 v90, v91, v114
	ds_store_2addr_b32 v148, v94, v95 offset1:32
	ds_store_b32 v148, v15 offset:256
	v_add_f16_e32 v15, v114, v121
	v_add_f16_e32 v94, v16, v103
	s_delay_alu instid0(VALU_DEP_2) | instskip(SKIP_1) | instid1(VALU_DEP_1)
	v_fmac_f16_e32 v91, -0.5, v15
	v_add_f16_e32 v15, v103, v117
	v_fmac_f16_e32 v16, -0.5, v15
	v_sub_f16_e32 v15, v103, v117
	s_delay_alu instid0(VALU_DEP_1) | instskip(SKIP_2) | instid1(VALU_DEP_1)
	v_fmamk_f16 v95, v15, 0xbaee, v91
	v_fmac_f16_e32 v91, 0x3aee, v15
	v_sub_f16_e32 v15, v114, v121
	v_fmamk_f16 v96, v15, 0x3aee, v16
	v_fmac_f16_e32 v16, 0xbaee, v15
	s_delay_alu instid0(VALU_DEP_1) | instskip(SKIP_2) | instid1(VALU_DEP_1)
	v_pack_b32_f16 v15, v91, v16
	v_add_f16_e32 v16, v90, v121
	v_add_f16_e32 v90, v94, v117
	v_pack_b32_f16 v16, v16, v90
	v_pack_b32_f16 v90, v95, v96
	ds_store_2addr_b32 v132, v16, v90 offset1:32
	ds_store_b32 v132, v15 offset:256
	v_add_f16_e32 v15, v125, v112
	v_lshrrev_b32_e32 v16, 16, v93
	v_add_f16_e32 v90, v93, v125
	v_add_f16_e32 v96, v123, v124
	s_delay_alu instid0(VALU_DEP_4) | instskip(SKIP_2) | instid1(VALU_DEP_2)
	v_fmac_f16_e32 v93, -0.5, v15
	v_add_f16_e32 v15, v109, v107
	v_add_f16_e32 v91, v16, v109
	v_fmac_f16_e32 v16, -0.5, v15
	v_sub_f16_e32 v15, v109, v107
	s_delay_alu instid0(VALU_DEP_1) | instskip(SKIP_2) | instid1(VALU_DEP_1)
	v_fmamk_f16 v94, v15, 0xbaee, v93
	v_fmac_f16_e32 v93, 0x3aee, v15
	v_sub_f16_e32 v15, v125, v112
	v_fmamk_f16 v95, v15, 0x3aee, v16
	v_fmac_f16_e32 v16, 0xbaee, v15
	v_add_f16_e32 v15, v116, v126
	s_delay_alu instid0(VALU_DEP_2) | instskip(SKIP_1) | instid1(VALU_DEP_3)
	v_pack_b32_f16 v16, v93, v16
	v_lshrrev_b32_e32 v93, 16, v92
	v_fma_f16 v15, -0.5, v15, v92
	v_add_f16_e32 v92, v92, v116
	s_delay_alu instid0(VALU_DEP_3) | instskip(SKIP_2) | instid1(VALU_DEP_4)
	v_add_f16_e32 v97, v93, v123
	v_fmac_f16_e32 v93, -0.5, v96
	v_sub_f16_e32 v96, v123, v124
	v_add_f16_e32 v92, v92, v126
	s_delay_alu instid0(VALU_DEP_4) | instskip(NEXT) | instid1(VALU_DEP_4)
	v_add_f16_e32 v97, v97, v124
	v_fmamk_f16 v99, v98, 0x3aee, v93
	v_fmac_f16_e32 v93, 0xbaee, v98
	s_delay_alu instid0(VALU_DEP_3) | instskip(SKIP_2) | instid1(VALU_DEP_2)
	v_pack_b32_f16 v92, v92, v97
	v_fmamk_f16 v97, v96, 0xbaee, v15
	v_fmac_f16_e32 v15, 0x3aee, v96
	v_pack_b32_f16 v97, v97, v99
	s_delay_alu instid0(VALU_DEP_2) | instskip(SKIP_4) | instid1(VALU_DEP_1)
	v_pack_b32_f16 v15, v15, v93
	ds_store_2addr_b32 v119, v92, v97 offset1:32
	ds_store_b32 v119, v15 offset:256
	v_add_f16_e32 v15, v90, v112
	v_add_f16_e32 v90, v91, v107
	v_pack_b32_f16 v15, v15, v90
	v_pack_b32_f16 v90, v94, v95
	ds_store_2addr_b32 v118, v15, v90 offset1:32
	ds_store_b32 v118, v16 offset:256
	s_waitcnt lgkmcnt(0)
	s_barrier
	buffer_gl0_inv
	ds_load_2addr_b32 v[15:16], v195 offset0:32 offset1:144
	ds_load_2addr_b32 v[90:91], v196 offset0:64 offset1:176
	s_waitcnt lgkmcnt(1)
	v_lshrrev_b32_e32 v92, 16, v15
	v_mul_f16_e64 v93, v178, v15
	s_waitcnt lgkmcnt(0)
	v_mul_f16_e64 v95, v177, v90
	v_mul_f16_e64 v98, v175, v91
	;; [unrolled: 1-line block ×3, first 2 shown]
	v_fma_f16 v92, v31, v92, -v93
	v_lshrrev_b32_e32 v93, 16, v90
	s_delay_alu instid0(VALU_DEP_3) | instskip(SKIP_1) | instid1(VALU_DEP_3)
	v_fmac_f16_e32 v94, v31, v15
	v_lshrrev_b32_e32 v31, 16, v16
	v_mul_f16_e64 v96, v177, v93
	v_fma_f16 v93, v32, v93, -v95
	v_lshrrev_b32_e32 v95, 16, v91
	s_delay_alu instid0(VALU_DEP_3) | instskip(SKIP_2) | instid1(VALU_DEP_4)
	v_fmac_f16_e32 v96, v32, v90
	v_mul_f16_e64 v90, v176, v31
	v_mul_f16_e64 v32, v176, v16
	;; [unrolled: 1-line block ×3, first 2 shown]
	v_add_f16_e32 v112, v92, v93
	s_delay_alu instid0(VALU_DEP_4)
	v_fmac_f16_e32 v90, v29, v16
	ds_load_2addr_b32 v[15:16], v47 offset0:128 offset1:240
	v_fma_f16 v29, v29, v31, -v32
	ds_load_2addr_b32 v[31:32], v194 offset0:32 offset1:144
	v_fmac_f16_e32 v97, v30, v91
	v_fma_f16 v30, v30, v95, -v98
	s_waitcnt lgkmcnt(1)
	v_lshrrev_b32_e32 v91, 16, v15
	v_mul_f16_e64 v95, v173, v15
	s_waitcnt lgkmcnt(0)
	v_mul_f16_e64 v99, v172, v31
	v_mul_f16_e64 v103, v170, v16
	v_lshrrev_b32_e32 v102, 16, v32
	v_mul_f16_e64 v98, v173, v91
	v_fma_f16 v91, v23, v91, -v95
	v_lshrrev_b32_e32 v95, 16, v31
	v_mul_f16_e64 v108, v169, v32
	v_mul_f16_e64 v107, v169, v102
	v_fmac_f16_e32 v98, v23, v15
	s_delay_alu instid0(VALU_DEP_4)
	v_mul_f16_e64 v101, v172, v95
	v_fma_f16 v95, v24, v95, -v99
	v_lshrrev_b32_e32 v99, 16, v16
	v_fmac_f16_e32 v107, v22, v32
	v_fma_f16 v22, v22, v102, -v108
	v_fmac_f16_e32 v101, v24, v31
	s_delay_alu instid0(VALU_DEP_4) | instskip(NEXT) | instid1(VALU_DEP_1)
	v_mul_f16_e64 v31, v170, v99
	v_fmac_f16_e32 v31, v21, v16
	ds_load_2addr_b32 v[15:16], v48 offset0:96 offset1:208
	ds_load_2addr_b32 v[23:24], v89 offset1:112
	v_fma_f16 v21, v21, v99, -v103
	s_waitcnt lgkmcnt(1)
	v_lshrrev_b32_e32 v32, 16, v15
	s_waitcnt lgkmcnt(0)
	v_lshrrev_b32_e32 v89, 16, v23
	v_mul_f16_e64 v99, v167, v15
	v_mul_f16_e64 v102, v168, v23
	;; [unrolled: 1-line block ×5, first 2 shown]
	v_fma_f16 v32, v19, v32, -v99
	v_fma_f16 v99, v20, v89, -v102
	v_mul_f16_e64 v89, v166, v16
	v_fmac_f16_e32 v103, v19, v15
	v_lshrrev_b32_e32 v15, 16, v16
	v_fmac_f16_e32 v108, v20, v23
	ds_load_2addr_b32 v[19:20], v58 offset1:112
	v_mul_f16_e64 v23, v166, v15
	v_fma_f16 v113, v17, v15, -v89
	v_add_f16_e32 v15, v94, v96
	v_sub_f16_e32 v89, v92, v93
	s_delay_alu instid0(VALU_DEP_4) | instskip(SKIP_1) | instid1(VALU_DEP_1)
	v_fmac_f16_e32 v23, v17, v16
	v_lshrrev_b32_e32 v16, 16, v24
	v_mul_f16_e64 v102, v165, v16
	v_fma_f16 v109, v18, v16, -v109
	s_delay_alu instid0(VALU_DEP_2) | instskip(SKIP_4) | instid1(VALU_DEP_3)
	v_fmac_f16_e32 v102, v18, v24
	s_waitcnt lgkmcnt(0)
	v_lshrrev_b32_e32 v24, 16, v19
	v_add_f16_e32 v17, v19, v94
	v_fma_f16 v19, -0.5, v15, v19
	v_add_f16_e32 v16, v24, v92
	v_fmac_f16_e32 v24, -0.5, v112
	v_sub_f16_e32 v92, v94, v96
	s_delay_alu instid0(VALU_DEP_3) | instskip(SKIP_2) | instid1(VALU_DEP_4)
	v_add_f16_e32 v15, v16, v93
	v_add_f16_e32 v16, v17, v96
	v_fmamk_f16 v17, v89, 0xbaee, v19
	v_fmamk_f16 v18, v92, 0x3aee, v24
	v_fmac_f16_e32 v19, 0x3aee, v89
	v_add_f16_e32 v89, v29, v30
	v_pack_b32_f16 v93, v16, v15
	v_fmac_f16_e32 v24, 0xbaee, v92
	v_pack_b32_f16 v94, v17, v18
	ds_load_2addr_b32 v[17:18], v33 offset0:96 offset1:208
	ds_load_2addr_b32 v[15:16], v34 offset0:64 offset1:176
	v_add_f16_e32 v33, v90, v97
	v_lshrrev_b32_e32 v34, 16, v20
	v_add_f16_e32 v92, v20, v90
	v_pack_b32_f16 v19, v19, v24
	s_waitcnt lgkmcnt(0)
	v_fmac_f16_e32 v20, -0.5, v33
	v_add_f16_e32 v33, v34, v29
	v_sub_f16_e32 v29, v29, v30
	v_fmac_f16_e32 v34, -0.5, v89
	v_sub_f16_e32 v89, v90, v97
	s_barrier
	buffer_gl0_inv
	v_fmamk_f16 v24, v29, 0xbaee, v20
	v_fmac_f16_e32 v20, 0x3aee, v29
	v_fmamk_f16 v29, v89, 0x3aee, v34
	v_fmac_f16_e32 v34, 0xbaee, v89
	ds_store_2addr_b32 v134, v93, v94 offset1:96
	ds_store_b32 v134, v19 offset:768
	v_add_f16_e32 v89, v91, v95
	v_add_f16_e32 v30, v33, v30
	;; [unrolled: 1-line block ×3, first 2 shown]
	v_pack_b32_f16 v19, v20, v34
	v_lshrrev_b32_e32 v20, 16, v17
	v_add_f16_e32 v34, v98, v101
	v_add_f16_e32 v96, v92, v97
	;; [unrolled: 1-line block ×5, first 2 shown]
	v_fma_f16 v17, -0.5, v34, v17
	v_sub_f16_e32 v34, v91, v95
	v_fmac_f16_e32 v20, -0.5, v89
	v_sub_f16_e32 v89, v98, v101
	v_lshrrev_b32_e32 v98, 16, v18
	v_add_f16_e32 v91, v18, v31
	v_fmamk_f16 v97, v34, 0xbaee, v17
	v_fmac_f16_e32 v17, 0x3aee, v34
	v_add_f16_e32 v34, v90, v95
	v_fmamk_f16 v95, v89, 0x3aee, v20
	v_add_f16_e32 v90, v31, v107
	v_fmac_f16_e32 v20, 0xbaee, v89
	v_add_f16_e32 v89, v21, v22
	v_sub_f16_e32 v31, v31, v107
	v_add_f16_e32 v101, v91, v107
	v_fmac_f16_e32 v18, -0.5, v90
	v_sub_f16_e32 v90, v21, v22
	v_add_f16_e32 v21, v98, v21
	v_fmac_f16_e32 v98, -0.5, v89
	v_lshrrev_b32_e32 v89, 16, v15
	v_add_f16_e32 v91, v15, v103
	v_fmamk_f16 v107, v90, 0xbaee, v18
	v_fmac_f16_e32 v18, 0x3aee, v90
	v_add_f16_e32 v21, v21, v22
	v_fmamk_f16 v22, v31, 0x3aee, v98
	v_add_f16_e32 v90, v103, v108
	v_fmac_f16_e32 v98, 0xbaee, v31
	v_add_f16_e32 v31, v32, v99
	v_sub_f16_e32 v93, v113, v109
	v_pack_b32_f16 v24, v24, v29
	v_fma_f16 v15, -0.5, v90, v15
	v_sub_f16_e32 v90, v32, v99
	v_add_f16_e32 v32, v89, v32
	v_fmac_f16_e32 v89, -0.5, v31
	v_sub_f16_e32 v31, v103, v108
	v_add_f16_e32 v103, v91, v108
	v_fmamk_f16 v108, v90, 0xbaee, v15
	v_fmac_f16_e32 v15, 0x3aee, v90
	v_add_f16_e32 v32, v32, v99
	v_fmamk_f16 v99, v31, 0x3aee, v89
	v_add_f16_e32 v91, v23, v102
	v_fmac_f16_e32 v89, 0xbaee, v31
	v_lshrrev_b32_e32 v90, 16, v16
	v_add_f16_e32 v31, v113, v109
	v_sub_f16_e32 v23, v23, v102
	v_fmac_f16_e32 v16, -0.5, v91
	v_pack_b32_f16 v29, v33, v34
	v_add_f16_e32 v94, v90, v113
	v_fmac_f16_e32 v90, -0.5, v31
	v_add_f16_e32 v92, v92, v102
	v_fmamk_f16 v91, v93, 0xbaee, v16
	v_fmac_f16_e32 v16, 0x3aee, v93
	v_add_f16_e32 v94, v94, v109
	v_fmamk_f16 v93, v23, 0x3aee, v90
	v_fmac_f16_e32 v90, 0xbaee, v23
	v_pack_b32_f16 v23, v96, v30
	v_pack_b32_f16 v30, v97, v95
	;; [unrolled: 1-line block ×5, first 2 shown]
	ds_store_2addr_b32 v110, v23, v24 offset1:96
	ds_store_b32 v110, v19 offset:768
	ds_store_2addr_b32 v111, v29, v30 offset1:96
	ds_store_b32 v111, v17 offset:768
	ds_store_2addr_b32 v104, v20, v21 offset1:96
	v_pack_b32_f16 v17, v18, v98
	v_pack_b32_f16 v18, v103, v32
	;; [unrolled: 1-line block ×7, first 2 shown]
	ds_store_b32 v104, v17 offset:768
	ds_store_2addr_b32 v106, v18, v19 offset1:96
	ds_store_b32 v106, v20 offset:768
	ds_store_2addr_b32 v105, v21, v22 offset1:96
	ds_store_b32 v105, v23 offset:768
	v_add_nc_u32_e32 v19, 0x400, v58
	v_add_nc_u32_e32 v20, 0x800, v58
	s_waitcnt lgkmcnt(0)
	s_barrier
	buffer_gl0_inv
	ds_load_2addr_b32 v[17:18], v58 offset1:112
	ds_load_2addr_b32 v[33:34], v19 offset0:32 offset1:144
	v_add_nc_u32_e32 v19, 0x1600, v58
	v_add_nc_u32_e32 v95, 0x1a00, v58
	ds_load_2addr_b32 v[31:32], v20 offset0:64 offset1:176
	ds_load_2addr_b32 v[29:30], v47 offset0:96 offset1:208
	;; [unrolled: 1-line block ×5, first 2 shown]
	s_and_saveexec_b32 s0, vcc_lo
	s_cbranch_execz .LBB0_7
; %bb.6:
	ds_load_b32 v15, v58 offset:896
	ds_load_b32 v92, v58 offset:2048
	;; [unrolled: 1-line block ×7, first 2 shown]
	s_waitcnt lgkmcnt(6)
	v_lshrrev_b32_e32 v89, 16, v15
	s_waitcnt lgkmcnt(5)
	v_lshrrev_b32_e32 v94, 16, v92
	s_waitcnt lgkmcnt(4)
	v_lshrrev_b32_e32 v93, 16, v91
	s_waitcnt lgkmcnt(3)
	v_lshrrev_b32_e32 v90, 16, v16
	s_waitcnt lgkmcnt(2)
	v_lshrrev_b32_e32 v43, 16, v35
	s_waitcnt lgkmcnt(1)
	v_lshrrev_b32_e32 v44, 16, v36
	s_waitcnt lgkmcnt(0)
	v_lshrrev_b32_e32 v46, 16, v45
.LBB0_7:
	s_or_b32 exec_lo, exec_lo, s0
	s_waitcnt lgkmcnt(5)
	v_lshrrev_b32_e32 v48, 16, v33
	s_waitcnt lgkmcnt(4)
	v_lshrrev_b32_e32 v95, 16, v31
	;; [unrolled: 2-line block ×5, first 2 shown]
	v_mul_f16_e64 v107, v193, v48
	v_mul_f16_e64 v108, v193, v33
	v_mul_f16_e64 v109, v192, v95
	v_mul_f16_e64 v110, v192, v31
	s_waitcnt lgkmcnt(0)
	v_lshrrev_b32_e32 v99, 16, v19
	v_lshrrev_b32_e32 v102, 16, v34
	v_fmac_f16_e32 v107, v8, v33
	v_fma_f16 v8, v8, v48, -v108
	v_fmac_f16_e32 v109, v9, v31
	v_fma_f16 v9, v9, v95, -v110
	v_mul_f16_e64 v31, v191, v96
	v_mul_f16_e64 v33, v191, v29
	;; [unrolled: 1-line block ×5, first 2 shown]
	v_lshrrev_b32_e32 v103, 16, v32
	v_lshrrev_b32_e32 v104, 16, v30
	;; [unrolled: 1-line block ×3, first 2 shown]
	v_fmac_f16_e32 v31, v10, v29
	v_fma_f16 v10, v10, v96, -v33
	v_fmac_f16_e32 v48, v11, v23
	v_fma_f16 v11, v11, v97, -v95
	v_fmac_f16_e32 v108, v25, v21
	v_mul_f16_e64 v21, v188, v21
	v_mul_f16_e64 v23, v187, v99
	;; [unrolled: 1-line block ×5, first 2 shown]
	v_lshrrev_b32_e32 v106, 16, v22
	v_lshrrev_b32_e32 v111, 16, v20
	v_fma_f16 v21, v25, v98, -v21
	v_fmac_f16_e32 v23, v26, v19
	v_fma_f16 v19, v26, v99, -v29
	v_fmac_f16_e32 v33, v4, v34
	v_fma_f16 v4, v4, v102, -v95
	v_mul_f16_e64 v25, v184, v103
	v_mul_f16_e64 v26, v184, v32
	;; [unrolled: 1-line block ×5, first 2 shown]
	v_fmac_f16_e32 v25, v5, v32
	v_fma_f16 v5, v5, v103, -v26
	v_fmac_f16_e32 v29, v6, v30
	v_fma_f16 v6, v6, v104, -v34
	v_fmac_f16_e32 v95, v7, v24
	v_mul_f16_e64 v24, v181, v24
	v_mul_f16_e64 v26, v180, v106
	;; [unrolled: 1-line block ×5, first 2 shown]
	v_fma_f16 v7, v7, v105, -v24
	v_fmac_f16_e32 v26, v27, v22
	v_fma_f16 v22, v27, v106, -v30
	v_fmac_f16_e32 v32, v28, v20
	v_fma_f16 v20, v28, v111, -v34
	v_add_f16_e32 v24, v107, v23
	v_add_f16_e32 v27, v8, v19
	v_sub_f16_e32 v8, v8, v19
	v_add_f16_e32 v19, v109, v108
	v_add_f16_e32 v28, v9, v21
	v_sub_f16_e32 v23, v107, v23
	v_sub_f16_e32 v30, v109, v108
	;; [unrolled: 1-line block ×3, first 2 shown]
	v_add_f16_e32 v21, v31, v48
	v_add_f16_e32 v34, v10, v11
	v_sub_f16_e32 v31, v48, v31
	v_sub_f16_e32 v10, v11, v10
	v_add_f16_e32 v11, v19, v24
	v_add_f16_e32 v48, v28, v27
	v_lshrrev_b32_e32 v47, 16, v17
	v_sub_f16_e32 v96, v19, v24
	v_sub_f16_e32 v97, v28, v27
	;; [unrolled: 1-line block ×6, first 2 shown]
	v_add_f16_e32 v98, v31, v30
	v_add_f16_e32 v99, v10, v9
	v_sub_f16_e32 v102, v31, v30
	v_sub_f16_e32 v103, v10, v9
	;; [unrolled: 1-line block ×3, first 2 shown]
	v_add_f16_e32 v11, v21, v11
	v_add_f16_e32 v21, v34, v48
	v_sub_f16_e32 v9, v9, v8
	v_sub_f16_e32 v31, v23, v31
	;; [unrolled: 1-line block ×3, first 2 shown]
	v_add_f16_e32 v23, v98, v23
	v_add_f16_e32 v8, v99, v8
	;; [unrolled: 1-line block ×4, first 2 shown]
	v_mul_f16_e32 v24, 0x3a52, v24
	v_mul_f16_e32 v27, 0x3a52, v27
	;; [unrolled: 1-line block ×8, first 2 shown]
	v_fmamk_f16 v11, v11, 0xbcab, v17
	v_fmamk_f16 v21, v21, 0xbcab, v34
	;; [unrolled: 1-line block ×4, first 2 shown]
	v_fma_f16 v47, v96, 0x39e0, -v47
	v_fma_f16 v48, v97, 0x39e0, -v48
	;; [unrolled: 1-line block ×4, first 2 shown]
	v_fmamk_f16 v96, v31, 0xb574, v98
	v_fmamk_f16 v97, v10, 0xb574, v99
	v_fma_f16 v31, v31, 0x3574, -v102
	v_fma_f16 v10, v10, 0x3574, -v103
	;; [unrolled: 1-line block ×4, first 2 shown]
	v_add_f16_e32 v19, v19, v11
	v_add_f16_e32 v28, v28, v21
	;; [unrolled: 1-line block ×6, first 2 shown]
	v_fmac_f16_e32 v96, 0xb70e, v23
	v_fmac_f16_e32 v10, 0xb70e, v8
	;; [unrolled: 1-line block ×5, first 2 shown]
	v_sub_f16_e32 v23, v28, v96
	v_add_f16_e32 v24, v10, v11
	v_sub_f16_e32 v27, v21, v31
	v_sub_f16_e32 v10, v11, v10
	v_add_f16_e32 v11, v31, v21
	v_add_f16_e32 v21, v96, v28
	v_add_f16_e32 v28, v33, v32
	v_add_f16_e32 v31, v4, v20
	v_sub_f16_e32 v32, v33, v32
	v_sub_f16_e32 v4, v4, v20
	v_add_f16_e32 v20, v25, v26
	v_add_f16_e32 v33, v5, v22
	v_fmac_f16_e32 v97, 0xb70e, v8
	v_sub_f16_e32 v98, v47, v9
	v_add_f16_e32 v9, v9, v47
	v_sub_f16_e32 v25, v25, v26
	v_sub_f16_e32 v5, v5, v22
	v_add_f16_e32 v22, v29, v95
	v_add_f16_e32 v26, v6, v7
	v_sub_f16_e32 v29, v95, v29
	v_sub_f16_e32 v6, v7, v6
	v_add_f16_e32 v7, v20, v28
	v_add_f16_e32 v47, v33, v31
	v_lshrrev_b32_e32 v101, 16, v18
	v_add_f16_e32 v8, v97, v19
	v_add_f16_e32 v99, v30, v48
	v_sub_f16_e32 v30, v48, v30
	v_sub_f16_e32 v19, v19, v97
	;; [unrolled: 1-line block ×8, first 2 shown]
	v_add_f16_e32 v96, v29, v25
	v_add_f16_e32 v97, v6, v5
	v_sub_f16_e32 v102, v29, v25
	v_sub_f16_e32 v103, v6, v5
	v_add_f16_e32 v7, v22, v7
	v_add_f16_e32 v22, v26, v47
	v_sub_f16_e32 v25, v25, v32
	v_sub_f16_e32 v5, v5, v4
	v_sub_f16_e32 v29, v32, v29
	v_sub_f16_e32 v6, v4, v6
	v_add_f16_e32 v26, v96, v32
	v_add_f16_e32 v4, v97, v4
	;; [unrolled: 1-line block ×4, first 2 shown]
	v_mul_f16_e32 v28, 0x3a52, v28
	v_mul_f16_e32 v31, 0x3a52, v31
	;; [unrolled: 1-line block ×8, first 2 shown]
	v_fmamk_f16 v7, v7, 0xbcab, v18
	v_fmamk_f16 v22, v22, 0xbcab, v32
	v_fmamk_f16 v20, v20, 0x2b26, v28
	v_fmamk_f16 v33, v33, 0x2b26, v31
	v_fma_f16 v47, v48, 0x39e0, -v47
	v_fma_f16 v96, v95, 0x39e0, -v96
	;; [unrolled: 1-line block ×4, first 2 shown]
	v_fmamk_f16 v48, v29, 0xb574, v97
	v_fmamk_f16 v95, v6, 0xb574, v101
	v_fma_f16 v29, v29, 0x3574, -v102
	v_fma_f16 v6, v6, 0x3574, -v103
	;; [unrolled: 1-line block ×4, first 2 shown]
	v_add_f16_e32 v20, v20, v7
	v_add_f16_e32 v33, v33, v22
	v_fmac_f16_e32 v48, 0xb70e, v26
	v_fmac_f16_e32 v95, 0xb70e, v4
	v_add_f16_e32 v47, v47, v7
	v_add_f16_e32 v96, v96, v22
	;; [unrolled: 1-line block ×4, first 2 shown]
	v_fmac_f16_e32 v6, 0xb70e, v4
	v_fmac_f16_e32 v29, 0xb70e, v26
	;; [unrolled: 1-line block ×4, first 2 shown]
	v_pack_b32_f16 v17, v17, v34
	v_add_f16_e32 v4, v95, v20
	v_sub_f16_e32 v26, v33, v48
	v_add_f16_e32 v28, v6, v7
	v_sub_f16_e32 v31, v22, v29
	v_pack_b32_f16 v8, v8, v23
	v_sub_f16_e32 v97, v47, v5
	v_add_f16_e32 v101, v25, v96
	ds_store_b32 v58, v17
	v_pack_b32_f16 v17, v24, v27
	v_add_f16_e32 v5, v5, v47
	v_sub_f16_e32 v25, v96, v25
	v_pack_b32_f16 v23, v98, v99
	v_sub_f16_e32 v6, v7, v6
	v_add_f16_e32 v7, v29, v22
	v_pack_b32_f16 v9, v9, v30
	v_sub_f16_e32 v20, v20, v95
	v_add_f16_e32 v22, v48, v33
	v_pack_b32_f16 v10, v10, v11
	v_pack_b32_f16 v4, v4, v26
	;; [unrolled: 1-line block ×4, first 2 shown]
	ds_store_b32 v100, v8 offset:1152
	ds_store_b32 v100, v17 offset:2304
	;; [unrolled: 1-line block ×7, first 2 shown]
	v_pack_b32_f16 v8, v28, v31
	v_pack_b32_f16 v9, v97, v101
	;; [unrolled: 1-line block ×5, first 2 shown]
	ds_store_b32 v100, v4 offset:1600
	ds_store_b32 v100, v8 offset:2752
	;; [unrolled: 1-line block ×6, first 2 shown]
	s_and_saveexec_b32 s0, vcc_lo
	s_cbranch_execz .LBB0_9
; %bb.8:
	v_mul_f16_e32 v5, v37, v90
	v_mul_f16_e32 v6, v41, v94
	;; [unrolled: 1-line block ×6, first 2 shown]
	v_fmac_f16_e32 v5, v2, v16
	v_mul_f16_e32 v8, v39, v93
	v_fmac_f16_e32 v6, v0, v92
	v_fmac_f16_e32 v7, v14, v45
	v_fma_f16 v9, v14, v46, -v9
	v_mul_f16_e32 v14, v40, v36
	v_mul_f16_e32 v18, v39, v91
	v_fma_f16 v0, v0, v94, -v11
	v_mul_f16_e32 v11, v37, v16
	v_mul_f16_e32 v16, v38, v35
	v_fmac_f16_e32 v4, v3, v35
	v_fmac_f16_e32 v8, v1, v91
	v_mul_f16_e32 v17, v40, v44
	v_fma_f16 v14, v13, v44, -v14
	v_fma_f16 v1, v1, v93, -v18
	;; [unrolled: 1-line block ×4, first 2 shown]
	v_fmac_f16_e32 v17, v13, v36
	v_add_f16_e32 v11, v9, v0
	v_add_f16_e32 v13, v14, v1
	v_sub_f16_e32 v19, v6, v7
	v_add_f16_e32 v18, v3, v2
	v_add_f16_e32 v6, v7, v6
	;; [unrolled: 1-line block ×4, first 2 shown]
	v_sub_f16_e32 v2, v3, v2
	v_sub_f16_e32 v22, v11, v18
	;; [unrolled: 1-line block ×4, first 2 shown]
	v_add_f16_e32 v20, v18, v20
	v_sub_f16_e32 v18, v18, v13
	v_mul_f16_e32 v22, 0x3a52, v22
	v_sub_f16_e32 v10, v4, v5
	v_add_f16_e32 v4, v4, v5
	v_sub_f16_e32 v16, v8, v17
	v_add_f16_e32 v17, v7, v6
	v_fmamk_f16 v26, v18, 0x2b26, v22
	v_mul_f16_e32 v8, 0x2b26, v18
	v_sub_f16_e32 v9, v2, v1
	v_sub_f16_e32 v18, v0, v2
	v_add_f16_e32 v2, v2, v1
	v_sub_f16_e32 v3, v6, v4
	v_sub_f16_e32 v21, v10, v16
	v_add_f16_e32 v24, v89, v20
	v_add_f16_e32 v17, v4, v17
	v_sub_f16_e32 v23, v19, v10
	v_add_f16_e32 v10, v10, v16
	v_sub_f16_e32 v16, v16, v19
	;; [unrolled: 2-line block ×3, first 2 shown]
	v_mul_f16_e32 v3, 0x3a52, v3
	v_sub_f16_e32 v4, v4, v7
	v_mul_f16_e32 v21, 0x3846, v21
	v_fmamk_f16 v20, v20, 0xbcab, v24
	v_add_f16_e32 v15, v15, v17
	v_mul_f16_e32 v9, 0x3846, v9
	v_sub_f16_e32 v11, v13, v11
	v_mul_f16_e32 v27, 0xbb00, v16
	v_sub_f16_e32 v6, v7, v6
	v_mul_f16_e32 v7, 0xbb00, v0
	v_add_f16_e32 v10, v10, v19
	v_fmamk_f16 v19, v4, 0x2b26, v3
	v_mul_f16_e32 v4, 0x2b26, v4
	v_fmamk_f16 v25, v23, 0xb574, v21
	v_add_f16_e32 v5, v26, v20
	v_fmamk_f16 v17, v17, 0xbcab, v15
	v_fmamk_f16 v26, v18, 0xb574, v9
	v_fma_f16 v22, v11, 0xb9e0, -v22
	v_fma_f16 v8, v11, 0x39e0, -v8
	;; [unrolled: 1-line block ×8, first 2 shown]
	v_fmac_f16_e32 v25, 0xb70e, v10
	v_add_f16_e32 v19, v19, v17
	v_fmac_f16_e32 v26, 0xb70e, v2
	v_add_f16_e32 v8, v8, v20
	v_fmac_f16_e32 v11, 0xb70e, v10
	v_fmac_f16_e32 v1, 0xb70e, v10
	v_add_f16_e32 v16, v22, v20
	v_add_f16_e32 v3, v3, v17
	v_fmac_f16_e32 v7, 0xb70e, v2
	v_fmac_f16_e32 v0, 0xb70e, v2
	v_add_f16_e32 v2, v4, v17
	v_add_f16_e32 v14, v25, v5
	v_sub_f16_e32 v10, v8, v11
	v_add_f16_e32 v4, v11, v8
	v_sub_f16_e32 v5, v5, v25
	v_add_f16_e32 v11, v26, v19
	v_add_f16_e32 v6, v1, v16
	v_sub_f16_e32 v9, v3, v7
	v_sub_f16_e32 v1, v16, v1
	v_add_f16_e32 v3, v7, v3
	v_sub_f16_e32 v7, v2, v0
	v_add_f16_e32 v0, v0, v2
	v_sub_f16_e32 v13, v19, v26
	v_pack_b32_f16 v8, v15, v24
	v_pack_b32_f16 v2, v11, v5
	;; [unrolled: 1-line block ×6, first 2 shown]
	ds_store_b32 v58, v8 offset:896
	v_pack_b32_f16 v5, v13, v14
	ds_store_b32 v100, v2 offset:2048
	ds_store_b32 v100, v1 offset:3200
	;; [unrolled: 1-line block ×6, first 2 shown]
.LBB0_9:
	s_or_b32 exec_lo, exec_lo, s0
	s_waitcnt lgkmcnt(0)
	s_barrier
	buffer_gl0_inv
	ds_load_2addr_b32 v[2:3], v58 offset1:112
	v_add_nc_u32_e32 v0, 0xc00, v58
	s_mov_b32 s8, 0x10410410
	s_mov_b32 s9, 0x3f404104
	v_mad_u64_u32 v[17:18], null, s4, v77, 0
	ds_load_2addr_b32 v[0:1], v0 offset0:128 offset1:240
	s_waitcnt lgkmcnt(1)
	v_lshrrev_b32_e32 v4, 16, v2
	v_mul_f16_e32 v5, v88, v2
	v_lshrrev_b32_e32 v15, 16, v3
	s_delay_alu instid0(VALU_DEP_3) | instskip(NEXT) | instid1(VALU_DEP_3)
	v_mul_f16_e32 v6, v88, v4
	v_fma_f16 v4, v84, v4, -v5
	s_waitcnt lgkmcnt(0)
	v_lshrrev_b32_e32 v8, 16, v1
	v_mul_f16_e32 v7, v87, v1
	v_mul_f16_e32 v9, v86, v15
	v_fmac_f16_e32 v6, v84, v2
	v_cvt_f32_f16_e32 v2, v4
	v_mul_f16_e32 v13, v87, v8
	s_delay_alu instid0(VALU_DEP_4) | instskip(NEXT) | instid1(VALU_DEP_4)
	v_fmac_f16_e32 v9, v81, v3
	v_cvt_f32_f16_e32 v6, v6
	s_delay_alu instid0(VALU_DEP_4) | instskip(SKIP_4) | instid1(VALU_DEP_4)
	v_cvt_f64_f32_e32 v[4:5], v2
	v_fma_f16 v2, v83, v8, -v7
	v_fmac_f16_e32 v13, v83, v1
	v_cvt_f32_f16_e32 v10, v9
	v_cvt_f64_f32_e32 v[6:7], v6
	v_cvt_f32_f16_e32 v2, v2
	s_delay_alu instid0(VALU_DEP_4) | instskip(NEXT) | instid1(VALU_DEP_4)
	v_cvt_f32_f16_e32 v1, v13
	v_cvt_f64_f32_e32 v[10:11], v10
	s_delay_alu instid0(VALU_DEP_3) | instskip(NEXT) | instid1(VALU_DEP_3)
	v_cvt_f64_f32_e32 v[8:9], v2
	v_cvt_f64_f32_e32 v[13:14], v1
	v_mul_f16_e32 v2, v86, v3
	s_delay_alu instid0(VALU_DEP_1) | instskip(SKIP_3) | instid1(VALU_DEP_3)
	v_fma_f16 v1, v81, v15, -v2
	v_mad_u64_u32 v[15:16], null, s6, v12, 0
	v_add_nc_u32_e32 v2, 0x1000, v58
	s_mul_hi_u32 s6, s4, 0xfc0
	v_cvt_f32_f16_e32 v1, v1
	s_delay_alu instid0(VALU_DEP_3) | instskip(NEXT) | instid1(VALU_DEP_2)
	v_mov_b32_e32 v3, v16
	v_cvt_f64_f32_e32 v[19:20], v1
	ds_load_2addr_b32 v[1:2], v2 offset0:96 offset1:208
	v_mul_f64 v[21:22], v[4:5], s[8:9]
	v_mul_f64 v[5:6], v[6:7], s[8:9]
	;; [unrolled: 1-line block ×4, first 2 shown]
	s_delay_alu instid0(VALU_DEP_2) | instskip(SKIP_1) | instid1(VALU_DEP_4)
	v_bfe_u32 v27, v8, 20, 11
	v_mov_b32_e32 v4, v18
	v_and_or_b32 v7, 0x1ff, v8, v7
	s_delay_alu instid0(VALU_DEP_4)
	v_and_or_b32 v9, 0x1ff, v10, v9
	v_lshrrev_b32_e32 v26, 8, v8
	v_sub_nc_u32_e32 v32, 0x3f1, v27
	v_add_nc_u32_e32 v27, 0xfffffc10, v27
	v_mad_u64_u32 v[23:24], null, s7, v12, v[3:4]
	v_mul_f64 v[11:12], v[13:14], s[8:9]
	v_mad_u64_u32 v[24:25], null, s5, v77, v[4:5]
	v_and_or_b32 v5, 0x1ff, v6, v5
	v_bfe_u32 v29, v10, 20, 11
	v_lshrrev_b32_e32 v28, 8, v10
	v_lshrrev_b32_e32 v8, 16, v8
	s_mul_i32 s7, s4, 0xfc0
	v_mov_b32_e32 v18, v24
	v_bfe_u32 v24, v6, 20, 11
	s_delay_alu instid0(VALU_DEP_2) | instskip(SKIP_2) | instid1(VALU_DEP_4)
	v_lshlrev_b64 v[13:14], 2, v[17:18]
	v_and_or_b32 v18, 0x1ff, v22, v21
	v_lshrrev_b32_e32 v21, 16, v22
	v_sub_nc_u32_e32 v30, 0x3f1, v24
	v_add_nc_u32_e32 v24, 0xfffffc10, v24
	v_bfe_u32 v31, v12, 20, 11
	v_mov_b32_e32 v16, v23
	s_waitcnt lgkmcnt(0)
	v_lshrrev_b32_e32 v23, 16, v1
	v_and_or_b32 v11, 0x1ff, v12, v11
	v_sub_nc_u32_e32 v34, 0x3f1, v31
	v_add_nc_u32_e32 v31, 0xfffffc10, v31
	v_lshlrev_b64 v[3:4], 2, v[15:16]
	v_mul_f16_e32 v15, v85, v23
	s_delay_alu instid0(VALU_DEP_2) | instskip(NEXT) | instid1(VALU_DEP_3)
	v_add_co_u32 v3, vcc_lo, s2, v3
	v_add_co_ci_u32_e32 v4, vcc_lo, s3, v4, vcc_lo
	s_delay_alu instid0(VALU_DEP_3) | instskip(NEXT) | instid1(VALU_DEP_3)
	v_fmac_f16_e32 v15, v79, v1
	v_add_co_u32 v13, vcc_lo, v3, v13
	s_delay_alu instid0(VALU_DEP_3) | instskip(SKIP_1) | instid1(VALU_DEP_4)
	v_add_co_ci_u32_e32 v14, vcc_lo, v4, v14, vcc_lo
	v_cmp_ne_u32_e32 vcc_lo, 0, v18
	v_cvt_f32_f16_e32 v17, v15
	v_mul_f64 v[15:16], v[19:20], s[8:9]
	v_lshrrev_b32_e32 v19, 8, v22
	v_bfe_u32 v20, v22, 20, 11
	v_cndmask_b32_e64 v18, 0, 1, vcc_lo
	v_cmp_ne_u32_e32 vcc_lo, 0, v5
	v_lshrrev_b32_e32 v22, 8, v6
	v_cmp_gt_i32_e64 s3, 1, v31
	v_sub_nc_u32_e32 v25, 0x3f1, v20
	v_and_or_b32 v18, 0xffe, v19, v18
	v_cndmask_b32_e64 v5, 0, 1, vcc_lo
	v_cmp_ne_u32_e32 vcc_lo, 0, v7
	v_add_nc_u32_e32 v20, 0xfffffc10, v20
	v_med3_i32 v19, v25, 0, 13
	v_lshrrev_b32_e32 v25, 8, v12
	v_and_or_b32 v5, 0xffe, v22, v5
	v_cndmask_b32_e64 v7, 0, 1, vcc_lo
	v_cmp_ne_u32_e32 vcc_lo, 0, v9
	v_med3_i32 v22, v30, 0, 13
	v_or_b32_e32 v30, 0x1000, v18
	v_lshl_or_b32 v33, v20, 12, v18
	v_and_or_b32 v7, 0xffe, v26, v7
	v_cndmask_b32_e64 v9, 0, 1, vcc_lo
	v_cmp_ne_u32_e32 vcc_lo, 0, v18
	v_med3_i32 v26, v32, 0, 13
	v_or_b32_e32 v32, 0x1000, v5
	v_lshrrev_b32_e32 v36, v19, v30
	v_lshl_or_b32 v35, v24, 12, v5
	v_cndmask_b32_e64 v18, 0, 1, vcc_lo
	v_cmp_ne_u32_e32 vcc_lo, 0, v11
	v_lshrrev_b32_e32 v38, v22, v32
	v_lshlrev_b32_e32 v19, v19, v36
	v_lshl_or_b32 v37, v27, 12, v7
	v_lshrrev_b32_e32 v6, 16, v6
	v_cndmask_b32_e64 v11, 0, 1, vcc_lo
	v_cmp_ne_u32_e32 vcc_lo, 0, v5
	v_lshlrev_b32_e32 v22, v22, v38
	v_lshl_or_b32 v18, v18, 9, 0x7c00
	v_and_or_b32 v9, 0xffe, v28, v9
	v_and_or_b32 v11, 0xffe, v25, v11
	v_cndmask_b32_e64 v5, 0, 1, vcc_lo
	v_med3_i32 v25, v34, 0, 13
	v_or_b32_e32 v34, 0x1000, v7
	v_and_or_b32 v15, 0x1ff, v16, v15
	v_cmp_ne_u32_e32 vcc_lo, 0, v11
	v_or_b32_e32 v39, 0x1000, v11
	v_lshl_or_b32 v40, v31, 12, v11
	v_lshrrev_b32_e32 v41, v26, v34
	v_lshl_or_b32 v5, v5, 9, 0x7c00
	v_cndmask_b32_e64 v11, 0, 1, vcc_lo
	v_cmp_ne_u32_e32 vcc_lo, v19, v30
	v_lshrrev_b32_e32 v30, v25, v39
	v_lshlrev_b32_e32 v26, v26, v41
	v_lshrrev_b32_e32 v12, 16, v12
	v_lshl_or_b32 v11, v11, 9, 0x7c00
	v_cndmask_b32_e64 v19, 0, 1, vcc_lo
	v_cmp_ne_u32_e32 vcc_lo, v22, v32
	v_lshlrev_b32_e32 v25, v25, v30
	v_mul_f16_e32 v1, v85, v1
	s_delay_alu instid0(VALU_DEP_4) | instskip(SKIP_2) | instid1(VALU_DEP_4)
	v_or_b32_e32 v19, v36, v19
	v_cndmask_b32_e64 v22, 0, 1, vcc_lo
	v_cmp_ne_u32_e32 vcc_lo, v26, v34
	v_fma_f16 v1, v79, v23, -v1
	s_delay_alu instid0(VALU_DEP_3) | instskip(SKIP_2) | instid1(VALU_DEP_4)
	v_or_b32_e32 v22, v38, v22
	v_cndmask_b32_e64 v26, 0, 1, vcc_lo
	v_cmp_gt_i32_e32 vcc_lo, 1, v20
	v_cvt_f32_f16_e32 v1, v1
	s_delay_alu instid0(VALU_DEP_3) | instskip(SKIP_2) | instid1(VALU_DEP_2)
	v_or_b32_e32 v26, v41, v26
	v_cndmask_b32_e32 v19, v33, v19, vcc_lo
	v_cmp_ne_u32_e32 vcc_lo, v25, v39
	v_and_b32_e32 v32, 7, v19
	v_cndmask_b32_e64 v25, 0, 1, vcc_lo
	v_cmp_gt_i32_e32 vcc_lo, 1, v24
	v_lshrrev_b32_e32 v19, 2, v19
	s_delay_alu instid0(VALU_DEP_4) | instskip(NEXT) | instid1(VALU_DEP_4)
	v_cmp_eq_u32_e64 s2, 3, v32
	v_or_b32_e32 v25, v30, v25
	v_cndmask_b32_e32 v22, v35, v22, vcc_lo
	v_cmp_gt_i32_e32 vcc_lo, 1, v27
	s_delay_alu instid0(VALU_DEP_3) | instskip(NEXT) | instid1(VALU_DEP_3)
	v_cndmask_b32_e64 v25, v40, v25, s3
	v_and_b32_e32 v30, 7, v22
	v_cndmask_b32_e32 v26, v37, v26, vcc_lo
	v_cmp_lt_i32_e32 vcc_lo, 5, v32
	v_lshrrev_b32_e32 v22, 2, v22
	v_and_b32_e32 v32, 7, v25
	v_cmp_lt_i32_e64 s0, 5, v30
	v_cmp_eq_u32_e64 s1, 3, v30
	s_or_b32 vcc_lo, s2, vcc_lo
	v_and_b32_e32 v30, 7, v26
	v_add_co_ci_u32_e32 v19, vcc_lo, 0, v19, vcc_lo
	s_delay_alu instid0(VALU_DEP_3)
	s_or_b32 s0, s1, s0
	v_cmp_gt_i32_e32 vcc_lo, 31, v24
	v_add_co_ci_u32_e64 v22, s0, 0, v22, s0
	v_cmp_eq_u32_e64 s0, 0x40f, v24
	v_cmp_eq_u32_e64 s1, 0x40f, v20
	s_mul_i32 s3, s4, 0xfffff200
	s_delay_alu instid0(VALU_DEP_3) | instskip(SKIP_2) | instid1(VALU_DEP_3)
	v_cndmask_b32_e32 v22, 0x7c00, v22, vcc_lo
	v_cmp_gt_i32_e32 vcc_lo, 31, v20
	v_lshrrev_b32_e32 v20, 2, v26
	v_cndmask_b32_e64 v5, v22, v5, s0
	v_cndmask_b32_e32 v19, 0x7c00, v19, vcc_lo
	v_cmp_lt_i32_e32 vcc_lo, 5, v32
	v_cmp_eq_u32_e64 s0, 3, v32
	v_lshrrev_b32_e32 v22, 2, v25
	v_and_or_b32 v5, 0x8000, v6, v5
	v_cndmask_b32_e64 v18, v19, v18, s1
	v_cmp_gt_i32_e64 s1, 31, v31
	s_or_b32 vcc_lo, s0, vcc_lo
	v_cmp_eq_u32_e64 s0, 3, v30
	v_add_co_ci_u32_e32 v6, vcc_lo, 0, v22, vcc_lo
	v_cmp_lt_i32_e32 vcc_lo, 5, v30
	v_and_or_b32 v18, 0x8000, v21, v18
	v_and_b32_e32 v5, 0xffff, v5
	s_delay_alu instid0(VALU_DEP_4)
	v_cndmask_b32_e64 v19, 0x7c00, v6, s1
	v_or_b32_e32 v21, 0x1000, v9
	s_or_b32 vcc_lo, s0, vcc_lo
	s_mul_i32 s0, s5, 0xfc0
	v_add_co_ci_u32_e32 v20, vcc_lo, 0, v20, vcc_lo
	v_cmp_ne_u32_e32 vcc_lo, 0, v7
	v_lshl_or_b32 v18, v18, 16, v5
	v_cvt_f64_f32_e32 v[5:6], v17
	v_sub_nc_u32_e32 v17, 0x3f1, v29
	s_add_i32 s6, s6, s0
	v_cndmask_b32_e64 v7, 0, 1, vcc_lo
	v_cmp_gt_i32_e32 vcc_lo, 31, v27
	global_store_b32 v[13:14], v18, off
	v_med3_i32 v17, v17, 0, 13
	s_mul_hi_u32 s1, s4, 0xfffff200
	v_lshl_or_b32 v7, v7, 9, 0x7c00
	v_cndmask_b32_e32 v20, 0x7c00, v20, vcc_lo
	v_cmp_eq_u32_e32 vcc_lo, 0x40f, v31
	s_sub_i32 s2, s1, s4
	v_lshrrev_b32_e32 v25, 16, v2
	v_cndmask_b32_e32 v11, v19, v11, vcc_lo
	v_lshrrev_b32_e32 v19, v17, v21
	v_cmp_eq_u32_e32 vcc_lo, 0x40f, v27
	s_delay_alu instid0(VALU_DEP_3) | instskip(NEXT) | instid1(VALU_DEP_3)
	v_and_or_b32 v11, 0x8000, v12, v11
	v_lshlrev_b32_e32 v17, v17, v19
	v_cndmask_b32_e32 v7, v20, v7, vcc_lo
	v_lshrrev_b32_e32 v12, 8, v16
	s_delay_alu instid0(VALU_DEP_4) | instskip(NEXT) | instid1(VALU_DEP_4)
	v_and_b32_e32 v22, 0xffff, v11
	v_cmp_ne_u32_e32 vcc_lo, v17, v21
	s_delay_alu instid0(VALU_DEP_4)
	v_and_or_b32 v18, 0x8000, v8, v7
	v_add_nc_u32_e32 v17, 0xfffffc10, v29
	v_add_nc_u32_e32 v11, 0x200, v58
	v_cndmask_b32_e64 v7, 0, 1, vcc_lo
	v_cmp_ne_u32_e32 vcc_lo, 0, v15
	v_bfe_u32 v15, v16, 20, 11
	v_lshl_or_b32 v22, v18, 16, v22
	v_lshrrev_b32_e32 v16, 16, v16
	v_or_b32_e32 v7, v19, v7
	v_cndmask_b32_e64 v8, 0, 1, vcc_lo
	v_cmp_gt_i32_e32 vcc_lo, 1, v17
	v_mul_f64 v[5:6], v[5:6], s[8:9]
	s_delay_alu instid0(VALU_DEP_3) | instskip(SKIP_3) | instid1(VALU_DEP_4)
	v_and_or_b32 v19, 0xffe, v12, v8
	v_sub_nc_u32_e32 v8, 0x3f1, v15
	v_lshl_or_b32 v12, v17, 12, v9
	v_add_nc_u32_e32 v15, 0xfffffc10, v15
	v_or_b32_e32 v20, 0x1000, v19
	s_delay_alu instid0(VALU_DEP_4) | instskip(NEXT) | instid1(VALU_DEP_4)
	v_med3_i32 v21, v8, 0, 13
	v_cndmask_b32_e32 v23, v12, v7, vcc_lo
	v_cvt_f64_f32_e32 v[7:8], v1
	ds_load_2addr_b32 v[11:12], v11 offset0:96 offset1:208
	v_lshrrev_b32_e32 v24, v21, v20
	s_delay_alu instid0(VALU_DEP_1) | instskip(NEXT) | instid1(VALU_DEP_1)
	v_lshlrev_b32_e32 v21, v21, v24
	v_cmp_ne_u32_e64 s0, v21, v20
	v_lshl_or_b32 v20, v15, 12, v19
	s_delay_alu instid0(VALU_DEP_2) | instskip(NEXT) | instid1(VALU_DEP_1)
	v_cndmask_b32_e64 v18, 0, 1, s0
	v_or_b32_e32 v18, v24, v18
	v_and_b32_e32 v1, 7, v23
	v_and_or_b32 v5, 0x1ff, v6, v5
	v_bfe_u32 v24, v6, 20, 11
	s_delay_alu instid0(VALU_DEP_3) | instskip(SKIP_3) | instid1(VALU_DEP_3)
	v_cmp_lt_i32_e32 vcc_lo, 5, v1
	v_cmp_eq_u32_e64 s0, 3, v1
	v_lshrrev_b32_e32 v1, 2, v23
	v_lshrrev_b32_e32 v28, 16, v6
	s_or_b32 vcc_lo, s0, vcc_lo
	v_cmp_ne_u32_e64 s0, 0, v5
	s_delay_alu instid0(VALU_DEP_3) | instskip(SKIP_2) | instid1(VALU_DEP_4)
	v_add_co_ci_u32_e32 v1, vcc_lo, 0, v1, vcc_lo
	v_cmp_ne_u32_e32 vcc_lo, 0, v9
	v_mul_f64 v[7:8], v[7:8], s[8:9]
	v_cndmask_b32_e64 v5, 0, 1, s0
	v_cndmask_b32_e64 v9, 0, 1, vcc_lo
	v_cmp_gt_i32_e32 vcc_lo, 1, v15
	s_delay_alu instid0(VALU_DEP_2) | instskip(SKIP_4) | instid1(VALU_DEP_3)
	v_lshl_or_b32 v9, v9, 9, 0x7c00
	v_cndmask_b32_e32 v18, v20, v18, vcc_lo
	s_waitcnt lgkmcnt(0)
	v_lshrrev_b32_e32 v20, 16, v11
	v_cmp_gt_i32_e32 vcc_lo, 31, v17
	v_and_b32_e32 v21, 7, v18
	s_delay_alu instid0(VALU_DEP_3)
	v_mul_f16_e32 v23, v82, v20
	v_cndmask_b32_e32 v1, 0x7c00, v1, vcc_lo
	v_cmp_eq_u32_e32 vcc_lo, 0x40f, v17
	v_lshrrev_b32_e32 v18, 2, v18
	v_cmp_eq_u32_e64 s0, 3, v21
	v_fmac_f16_e32 v23, v76, v11
	v_lshrrev_b32_e32 v17, 16, v10
	v_cndmask_b32_e32 v1, v1, v9, vcc_lo
	v_cmp_lt_i32_e32 vcc_lo, 5, v21
	v_lshrrev_b32_e32 v9, 8, v6
	v_cvt_f32_f16_e32 v10, v23
	v_sub_nc_u32_e32 v21, 0x3f1, v24
	v_mul_f16_e32 v11, v82, v11
	s_or_b32 vcc_lo, s0, vcc_lo
	v_and_or_b32 v5, 0xffe, v9, v5
	v_add_co_ci_u32_e32 v18, vcc_lo, 0, v18, vcc_lo
	v_cmp_ne_u32_e32 vcc_lo, 0, v19
	v_cvt_f64_f32_e32 v[9:10], v10
	s_delay_alu instid0(VALU_DEP_4)
	v_or_b32_e32 v23, 0x1000, v5
	v_med3_i32 v21, v21, 0, 13
	v_and_or_b32 v1, 0x8000, v17, v1
	v_cndmask_b32_e64 v19, 0, 1, vcc_lo
	v_cmp_gt_i32_e32 vcc_lo, 31, v15
	v_fma_f16 v11, v76, v20, -v11
	v_lshrrev_b32_e32 v17, v21, v23
	v_and_or_b32 v7, 0x1ff, v8, v7
	v_lshl_or_b32 v19, v19, 9, 0x7c00
	v_cndmask_b32_e32 v18, 0x7c00, v18, vcc_lo
	v_cmp_eq_u32_e32 vcc_lo, 0x40f, v15
	v_cvt_f32_f16_e32 v11, v11
	v_and_b32_e32 v1, 0xffff, v1
	v_add_nc_u32_e32 v20, 0xfffffc10, v24
	s_mul_i32 s0, s5, 0xfffff200
	v_dual_cndmask_b32 v15, v18, v19 :: v_dual_lshlrev_b32 v18, v21, v17
	v_add_co_u32 v13, vcc_lo, v13, s7
	v_add_co_ci_u32_e32 v14, vcc_lo, s6, v14, vcc_lo
	s_delay_alu instid0(VALU_DEP_3) | instskip(NEXT) | instid1(VALU_DEP_4)
	v_cmp_ne_u32_e32 vcc_lo, v18, v23
	v_and_or_b32 v19, 0x8000, v16, v15
	v_cvt_f64_f32_e32 v[15:16], v11
	s_add_i32 s2, s2, s0
	v_cndmask_b32_e64 v11, 0, 1, vcc_lo
	v_cmp_ne_u32_e32 vcc_lo, 0, v7
	v_lshl_or_b32 v21, v19, 16, v1
	v_bfe_u32 v19, v8, 20, 11
	s_delay_alu instid0(VALU_DEP_4)
	v_or_b32_e32 v1, v17, v11
	v_lshl_or_b32 v11, v20, 12, v5
	v_cndmask_b32_e64 v7, 0, 1, vcc_lo
	v_cmp_gt_i32_e32 vcc_lo, 1, v20
	v_lshrrev_b32_e32 v17, 8, v8
	v_lshrrev_b32_e32 v8, 16, v8
	v_mul_f64 v[9:10], v[9:10], s[8:9]
	v_cndmask_b32_e32 v1, v11, v1, vcc_lo
	s_delay_alu instid0(VALU_DEP_4) | instskip(SKIP_1) | instid1(VALU_DEP_3)
	v_and_or_b32 v7, 0xffe, v17, v7
	v_sub_nc_u32_e32 v11, 0x3f1, v19
	v_and_b32_e32 v17, 7, v1
	s_delay_alu instid0(VALU_DEP_3) | instskip(NEXT) | instid1(VALU_DEP_3)
	v_or_b32_e32 v23, 0x1000, v7
	v_med3_i32 v11, v11, 0, 13
	v_lshrrev_b32_e32 v1, 2, v1
	s_delay_alu instid0(VALU_DEP_4) | instskip(SKIP_1) | instid1(VALU_DEP_4)
	v_cmp_lt_i32_e32 vcc_lo, 5, v17
	v_cmp_eq_u32_e64 s0, 3, v17
	v_lshrrev_b32_e32 v24, v11, v23
	v_add_co_u32 v17, s1, v13, s3
	s_delay_alu instid0(VALU_DEP_1) | instskip(NEXT) | instid1(VALU_DEP_4)
	v_add_co_ci_u32_e64 v18, s1, s2, v14, s1
	s_or_b32 vcc_lo, s0, vcc_lo
	s_delay_alu instid0(VALU_DEP_3)
	v_lshlrev_b32_e32 v11, v11, v24
	v_add_co_ci_u32_e32 v1, vcc_lo, 0, v1, vcc_lo
	v_cmp_ne_u32_e32 vcc_lo, 0, v5
	v_mul_f64 v[15:16], v[15:16], s[8:9]
	s_clause 0x1
	global_store_b32 v[13:14], v22, off
	global_store_b32 v[17:18], v21, off
	v_lshrrev_b32_e32 v21, 16, v12
	v_cndmask_b32_e64 v5, 0, 1, vcc_lo
	v_cmp_ne_u32_e32 vcc_lo, v11, v23
	v_add_nc_u32_e32 v23, 0xfffffc10, v19
	v_mul_f16_e32 v19, v80, v25
	v_mul_f16_e32 v14, v78, v21
	v_lshl_or_b32 v5, v5, 9, 0x7c00
	v_cndmask_b32_e64 v11, 0, 1, vcc_lo
	v_cmp_gt_i32_e32 vcc_lo, 31, v20
	v_fmac_f16_e32 v19, v74, v2
	v_mul_f16_e32 v2, v80, v2
	v_and_or_b32 v9, 0x1ff, v10, v9
	v_or_b32_e32 v11, v24, v11
	v_cndmask_b32_e32 v1, 0x7c00, v1, vcc_lo
	v_cmp_eq_u32_e32 vcc_lo, 0x40f, v20
	v_lshl_or_b32 v24, v23, 12, v7
	v_fma_f16 v2, v74, v25, -v2
	v_fmac_f16_e32 v14, v72, v12
	v_cndmask_b32_e32 v26, v1, v5, vcc_lo
	v_cmp_gt_i32_e32 vcc_lo, 1, v23
	v_cvt_f32_f16_e32 v5, v19
	v_cndmask_b32_e32 v1, v24, v11, vcc_lo
	v_cmp_ne_u32_e32 vcc_lo, 0, v9
	s_delay_alu instid0(VALU_DEP_3)
	v_cvt_f64_f32_e32 v[19:20], v5
	v_lshrrev_b32_e32 v11, 8, v10
	v_bfe_u32 v24, v10, 20, 11
	v_and_b32_e32 v27, 7, v1
	v_cndmask_b32_e64 v9, 0, 1, vcc_lo
	v_lshrrev_b32_e32 v1, 2, v1
	s_delay_alu instid0(VALU_DEP_4) | instskip(NEXT) | instid1(VALU_DEP_4)
	v_sub_nc_u32_e32 v5, 0x3f1, v24
	v_cmp_lt_i32_e32 vcc_lo, 5, v27
	v_cmp_eq_u32_e64 s0, 3, v27
	v_and_or_b32 v9, 0xffe, v11, v9
	v_and_or_b32 v15, 0x1ff, v16, v15
	v_med3_i32 v5, v5, 0, 13
	v_lshrrev_b32_e32 v27, 8, v16
	s_or_b32 vcc_lo, s0, vcc_lo
	v_or_b32_e32 v6, 0x1000, v9
	v_add_co_ci_u32_e32 v1, vcc_lo, 0, v1, vcc_lo
	v_cmp_ne_u32_e32 vcc_lo, 0, v7
	v_bfe_u32 v29, v16, 20, 11
	s_delay_alu instid0(VALU_DEP_4)
	v_lshrrev_b32_e32 v11, v5, v6
	v_add_nc_u32_e32 v24, 0xfffffc10, v24
	v_lshrrev_b32_e32 v16, 16, v16
	v_cndmask_b32_e64 v7, 0, 1, vcc_lo
	v_cmp_gt_i32_e32 vcc_lo, 31, v23
	v_lshlrev_b32_e32 v5, v5, v11
	s_delay_alu instid0(VALU_DEP_3) | instskip(SKIP_3) | instid1(VALU_DEP_2)
	v_lshl_or_b32 v7, v7, 9, 0x7c00
	v_cndmask_b32_e32 v25, 0x7c00, v1, vcc_lo
	v_cvt_f32_f16_e32 v1, v2
	v_cmp_ne_u32_e32 vcc_lo, 0, v15
	v_cvt_f64_f32_e32 v[1:2], v1
	v_cndmask_b32_e64 v15, 0, 1, vcc_lo
	v_cmp_eq_u32_e32 vcc_lo, 0x40f, v23
	v_sub_nc_u32_e32 v23, 0x3f1, v29
	s_delay_alu instid0(VALU_DEP_3)
	v_and_or_b32 v15, 0xffe, v27, v15
	v_cndmask_b32_e32 v7, v25, v7, vcc_lo
	v_cmp_ne_u32_e32 vcc_lo, v5, v6
	v_mul_f64 v[5:6], v[19:20], s[8:9]
	v_med3_i32 v23, v23, 0, 13
	v_or_b32_e32 v27, 0x1000, v15
	v_lshl_or_b32 v19, v24, 12, v9
	v_cndmask_b32_e64 v25, 0, 1, vcc_lo
	v_cmp_gt_i32_e32 vcc_lo, 1, v24
	v_and_or_b32 v20, 0x8000, v28, v26
	v_and_or_b32 v7, 0x8000, v8, v7
	s_delay_alu instid0(VALU_DEP_4) | instskip(SKIP_1) | instid1(VALU_DEP_2)
	v_or_b32_e32 v11, v11, v25
	v_lshrrev_b32_e32 v25, v23, v27
	v_cndmask_b32_e32 v8, v19, v11, vcc_lo
	s_delay_alu instid0(VALU_DEP_2) | instskip(SKIP_1) | instid1(VALU_DEP_3)
	v_lshlrev_b32_e32 v19, v23, v25
	v_and_b32_e32 v11, 0xffff, v20
	v_and_b32_e32 v13, 7, v8
	s_delay_alu instid0(VALU_DEP_3) | instskip(NEXT) | instid1(VALU_DEP_3)
	v_cmp_ne_u32_e32 vcc_lo, v19, v27
	v_lshl_or_b32 v20, v7, 16, v11
	v_lshrrev_b32_e32 v8, 2, v8
	v_add_nc_u32_e32 v19, 0xfffffc10, v29
	v_cmp_eq_u32_e64 s0, 3, v13
	v_cndmask_b32_e64 v7, 0, 1, vcc_lo
	v_cmp_lt_i32_e32 vcc_lo, 5, v13
	s_delay_alu instid0(VALU_DEP_4) | instskip(SKIP_1) | instid1(VALU_DEP_4)
	v_lshl_or_b32 v11, v19, 12, v15
	v_mul_f64 v[1:2], v[1:2], s[8:9]
	v_or_b32_e32 v7, v25, v7
	s_or_b32 vcc_lo, s0, vcc_lo
	v_add_co_ci_u32_e32 v13, vcc_lo, 0, v8, vcc_lo
	v_cmp_gt_i32_e32 vcc_lo, 1, v19
	v_and_or_b32 v5, 0x1ff, v6, v5
	v_lshrrev_b32_e32 v22, 8, v6
	v_cndmask_b32_e32 v11, v11, v7, vcc_lo
	v_add_co_u32 v7, vcc_lo, v17, s7
	v_add_co_ci_u32_e32 v8, vcc_lo, s6, v18, vcc_lo
	v_cmp_gt_i32_e32 vcc_lo, 31, v24
	s_delay_alu instid0(VALU_DEP_4)
	v_and_b32_e32 v18, 7, v11
	v_cmp_ne_u32_e64 s0, 0, v5
	v_lshrrev_b32_e32 v11, 2, v11
	v_bfe_u32 v23, v6, 20, 11
	v_cndmask_b32_e32 v17, 0x7c00, v13, vcc_lo
	v_cmp_ne_u32_e32 vcc_lo, 0, v9
	v_cvt_f32_f16_e32 v13, v14
	v_cndmask_b32_e64 v5, 0, 1, s0
	v_cmp_eq_u32_e64 s0, 3, v18
	global_store_b32 v[7:8], v20, off
	v_cndmask_b32_e64 v9, 0, 1, vcc_lo
	v_cmp_lt_i32_e32 vcc_lo, 5, v18
	v_cvt_f64_f32_e32 v[13:14], v13
	v_and_or_b32 v5, 0xffe, v22, v5
	v_sub_nc_u32_e32 v18, 0x3f1, v23
	v_lshl_or_b32 v9, v9, 9, 0x7c00
	s_or_b32 vcc_lo, s0, vcc_lo
	v_lshrrev_b32_e32 v6, 16, v6
	v_add_co_ci_u32_e32 v11, vcc_lo, 0, v11, vcc_lo
	v_cmp_eq_u32_e32 vcc_lo, 0x40f, v24
	v_or_b32_e32 v22, 0x1000, v5
	v_med3_i32 v18, v18, 0, 13
	v_and_or_b32 v1, 0x1ff, v2, v1
	v_lshrrev_b32_e32 v24, 16, v10
	v_cndmask_b32_e32 v17, v17, v9, vcc_lo
	v_cmp_gt_i32_e32 vcc_lo, 31, v19
	v_lshrrev_b32_e32 v9, v18, v22
	v_mul_f16_e32 v10, v78, v12
	v_lshrrev_b32_e32 v12, 8, v2
	v_and_or_b32 v17, 0x8000, v24, v17
	v_cndmask_b32_e32 v25, 0x7c00, v11, vcc_lo
	v_cmp_ne_u32_e32 vcc_lo, 0, v15
	v_lshlrev_b32_e32 v11, v18, v9
	v_bfe_u32 v18, v2, 20, 11
	v_fma_f16 v10, v72, v21, -v10
	v_add_nc_u32_e32 v21, 0xfffffc10, v23
	v_cndmask_b32_e64 v15, 0, 1, vcc_lo
	v_cmp_ne_u32_e32 vcc_lo, 0, v1
	v_and_b32_e32 v17, 0xffff, v17
	v_cvt_f32_f16_e32 v10, v10
	v_lshl_or_b32 v23, v21, 12, v5
	v_lshrrev_b32_e32 v2, 16, v2
	v_cndmask_b32_e64 v1, 0, 1, vcc_lo
	v_cmp_ne_u32_e32 vcc_lo, v11, v22
	s_delay_alu instid0(VALU_DEP_2)
	v_and_or_b32 v1, 0xffe, v12, v1
	v_cndmask_b32_e64 v11, 0, 1, vcc_lo
	v_sub_nc_u32_e32 v12, 0x3f1, v18
	v_cmp_gt_i32_e32 vcc_lo, 1, v21
	v_add_nc_u32_e32 v18, 0xfffffc10, v18
	v_or_b32_e32 v26, 0x1000, v1
	v_or_b32_e32 v22, v9, v11
	v_med3_i32 v27, v12, 0, 13
	v_cvt_f64_f32_e32 v[9:10], v10
	v_mul_f64 v[11:12], v[13:14], s[8:9]
	v_lshl_or_b32 v13, v15, 9, 0x7c00
	v_cndmask_b32_e32 v15, v23, v22, vcc_lo
	v_lshrrev_b32_e32 v22, v27, v26
	v_cmp_eq_u32_e32 vcc_lo, 0x40f, v19
	v_add_nc_u32_e32 v14, 0x1400, v58
	v_lshl_or_b32 v20, v18, 12, v1
	v_and_b32_e32 v23, 7, v15
	v_lshrrev_b32_e32 v15, 2, v15
	v_cndmask_b32_e32 v19, v25, v13, vcc_lo
	v_lshlrev_b32_e32 v25, v27, v22
	ds_load_2addr_b32 v[13:14], v14 offset0:64 offset1:176
	v_cmp_lt_i32_e32 vcc_lo, 5, v23
	v_and_or_b32 v19, 0x8000, v16, v19
	v_cmp_ne_u32_e64 s0, v25, v26
	s_delay_alu instid0(VALU_DEP_1) | instskip(SKIP_1) | instid1(VALU_DEP_2)
	v_cndmask_b32_e64 v16, 0, 1, s0
	v_cmp_eq_u32_e64 s0, 3, v23
	v_or_b32_e32 v16, v22, v16
	s_delay_alu instid0(VALU_DEP_2) | instskip(SKIP_2) | instid1(VALU_DEP_3)
	s_or_b32 vcc_lo, s0, vcc_lo
	v_add_co_ci_u32_e32 v15, vcc_lo, 0, v15, vcc_lo
	v_cmp_gt_i32_e32 vcc_lo, 1, v18
	v_cndmask_b32_e32 v16, v20, v16, vcc_lo
	v_cmp_ne_u32_e32 vcc_lo, 0, v5
	s_waitcnt lgkmcnt(0)
	v_lshrrev_b32_e32 v20, 16, v13
	v_mul_f64 v[9:10], v[9:10], s[8:9]
	v_and_or_b32 v11, 0x1ff, v12, v11
	v_lshrrev_b32_e32 v24, 8, v12
	v_cndmask_b32_e64 v5, 0, 1, vcc_lo
	v_cmp_gt_i32_e32 vcc_lo, 31, v21
	v_mul_f16_e32 v23, v75, v20
	v_cmp_ne_u32_e64 s1, 0, v11
	s_delay_alu instid0(VALU_DEP_4) | instskip(SKIP_1) | instid1(VALU_DEP_4)
	v_lshl_or_b32 v5, v5, 9, 0x7c00
	v_dual_cndmask_b32 v22, 0x7c00, v15 :: v_dual_and_b32 v15, 7, v16
	v_fmac_f16_e32 v23, v70, v13
	s_delay_alu instid0(VALU_DEP_4) | instskip(SKIP_1) | instid1(VALU_DEP_4)
	v_cndmask_b32_e64 v11, 0, 1, s1
	v_mul_f16_e32 v13, v75, v13
	v_cmp_lt_i32_e32 vcc_lo, 5, v15
	v_cmp_eq_u32_e64 s0, 3, v15
	v_lshrrev_b32_e32 v15, 2, v16
	v_cvt_f32_f16_e32 v16, v23
	v_bfe_u32 v23, v12, 20, 11
	v_and_or_b32 v11, 0xffe, v24, v11
	s_or_b32 vcc_lo, s0, vcc_lo
	v_lshrrev_b32_e32 v12, 16, v12
	v_add_co_ci_u32_e32 v25, vcc_lo, 0, v15, vcc_lo
	v_cmp_ne_u32_e32 vcc_lo, 0, v1
	v_cvt_f64_f32_e32 v[15:16], v16
	v_sub_nc_u32_e32 v24, 0x3f1, v23
	v_or_b32_e32 v26, 0x1000, v11
	v_cndmask_b32_e64 v1, 0, 1, vcc_lo
	v_cmp_gt_i32_e32 vcc_lo, 31, v18
	s_delay_alu instid0(VALU_DEP_4) | instskip(NEXT) | instid1(VALU_DEP_3)
	v_med3_i32 v24, v24, 0, 13
	v_lshl_or_b32 v1, v1, 9, 0x7c00
	v_cndmask_b32_e32 v25, 0x7c00, v25, vcc_lo
	v_cmp_eq_u32_e32 vcc_lo, 0x40f, v21
	s_delay_alu instid0(VALU_DEP_4) | instskip(SKIP_3) | instid1(VALU_DEP_4)
	v_lshrrev_b32_e32 v21, v24, v26
	v_cndmask_b32_e32 v5, v22, v5, vcc_lo
	v_cmp_eq_u32_e32 vcc_lo, 0x40f, v18
	v_lshl_or_b32 v22, v19, 16, v17
	v_lshlrev_b32_e32 v17, v24, v21
	s_delay_alu instid0(VALU_DEP_4) | instskip(SKIP_1) | instid1(VALU_DEP_3)
	v_and_or_b32 v18, 0x8000, v6, v5
	v_cndmask_b32_e32 v1, v25, v1, vcc_lo
	v_cmp_ne_u32_e32 vcc_lo, v17, v26
	s_delay_alu instid0(VALU_DEP_3) | instskip(NEXT) | instid1(VALU_DEP_3)
	v_and_b32_e32 v18, 0xffff, v18
	v_and_or_b32 v19, 0x8000, v2, v1
	v_and_or_b32 v2, 0x1ff, v10, v9
	v_fma_f16 v1, v70, v20, -v13
	v_cndmask_b32_e64 v5, 0, 1, vcc_lo
	v_lshrrev_b32_e32 v13, 8, v10
	v_add_nc_u32_e32 v9, 0xfffffc10, v23
	v_cmp_ne_u32_e32 vcc_lo, 0, v2
	v_cvt_f32_f16_e32 v1, v1
	v_bfe_u32 v20, v10, 20, 11
	v_or_b32_e32 v17, v21, v5
	v_add_nc_u32_e32 v21, 0x600, v58
	v_cndmask_b32_e64 v6, 0, 1, vcc_lo
	v_cvt_f64_f32_e32 v[1:2], v1
	v_lshl_or_b32 v23, v9, 12, v11
	v_sub_nc_u32_e32 v24, 0x3f1, v20
	v_cmp_gt_i32_e32 vcc_lo, 1, v9
	v_and_or_b32 v13, 0xffe, v13, v6
	v_mul_f64 v[5:6], v[15:16], s[8:9]
	ds_load_2addr_b32 v[15:16], v21 offset0:64 offset1:176
	v_med3_i32 v24, v24, 0, 13
	v_cndmask_b32_e32 v21, v23, v17, vcc_lo
	v_or_b32_e32 v23, 0x1000, v13
	v_add_co_u32 v7, vcc_lo, v7, s3
	v_add_co_ci_u32_e32 v8, vcc_lo, s2, v8, vcc_lo
	s_delay_alu instid0(VALU_DEP_3) | instskip(SKIP_3) | instid1(VALU_DEP_4)
	v_lshrrev_b32_e32 v26, v24, v23
	v_lshl_or_b32 v25, v19, 16, v18
	v_and_b32_e32 v19, 7, v21
	v_add_co_u32 v17, vcc_lo, v7, s7
	v_lshlrev_b32_e32 v24, v24, v26
	v_add_co_ci_u32_e32 v18, vcc_lo, s6, v8, vcc_lo
	s_delay_alu instid0(VALU_DEP_4)
	v_cmp_lt_i32_e32 vcc_lo, 5, v19
	v_cmp_eq_u32_e64 s0, 3, v19
	v_lshrrev_b32_e32 v19, 2, v21
	v_cmp_ne_u32_e64 s1, v24, v23
	v_add_nc_u32_e32 v23, 0xfffffc10, v20
	s_waitcnt lgkmcnt(0)
	v_lshrrev_b32_e32 v27, 16, v15
	s_or_b32 vcc_lo, s0, vcc_lo
	v_lshrrev_b32_e32 v10, 16, v10
	v_add_co_ci_u32_e32 v19, vcc_lo, 0, v19, vcc_lo
	v_cndmask_b32_e64 v21, 0, 1, s1
	v_cmp_ne_u32_e32 vcc_lo, 0, v11
	v_lshl_or_b32 v24, v23, 12, v13
	v_mul_f16_e32 v20, v73, v27
	global_store_b32 v[7:8], v22, off
	global_store_b32 v[17:18], v25, off
	v_or_b32_e32 v21, v26, v21
	v_cndmask_b32_e64 v11, 0, 1, vcc_lo
	v_cmp_gt_i32_e32 vcc_lo, 1, v23
	v_mul_f64 v[1:2], v[1:2], s[8:9]
	v_fmac_f16_e32 v20, v68, v15
	v_mul_f16_e32 v15, v73, v15
	v_and_or_b32 v5, 0x1ff, v6, v5
	v_cndmask_b32_e32 v21, v24, v21, vcc_lo
	v_cmp_gt_i32_e32 vcc_lo, 31, v9
	v_cvt_f32_f16_e32 v20, v20
	v_lshl_or_b32 v11, v11, 9, 0x7c00
	v_lshrrev_b32_e32 v28, 8, v6
	v_and_b32_e32 v26, 7, v21
	v_cndmask_b32_e32 v24, 0x7c00, v19, vcc_lo
	v_cmp_ne_u32_e32 vcc_lo, 0, v5
	v_bfe_u32 v29, v6, 20, 11
	v_cvt_f64_f32_e32 v[19:20], v20
	v_cmp_eq_u32_e64 s0, 3, v26
	v_lshrrev_b32_e32 v21, 2, v21
	v_cndmask_b32_e64 v5, 0, 1, vcc_lo
	v_cmp_eq_u32_e32 vcc_lo, 0x40f, v9
	v_lshrrev_b32_e32 v6, 16, v6
	s_delay_alu instid0(VALU_DEP_3) | instskip(SKIP_3) | instid1(VALU_DEP_4)
	v_and_or_b32 v5, 0xffe, v28, v5
	v_cndmask_b32_e32 v9, v24, v11, vcc_lo
	v_cmp_lt_i32_e32 vcc_lo, 5, v26
	v_sub_nc_u32_e32 v11, 0x3f1, v29
	v_or_b32_e32 v24, 0x1000, v5
	s_delay_alu instid0(VALU_DEP_4) | instskip(SKIP_1) | instid1(VALU_DEP_3)
	v_and_or_b32 v9, 0x8000, v12, v9
	s_or_b32 vcc_lo, s0, vcc_lo
	v_med3_i32 v11, v11, 0, 13
	v_add_co_ci_u32_e32 v21, vcc_lo, 0, v21, vcc_lo
	v_cmp_ne_u32_e32 vcc_lo, 0, v13
	v_and_b32_e32 v9, 0xffff, v9
	s_delay_alu instid0(VALU_DEP_4) | instskip(SKIP_2) | instid1(VALU_DEP_3)
	v_lshrrev_b32_e32 v26, v11, v24
	v_cndmask_b32_e64 v13, 0, 1, vcc_lo
	v_cmp_gt_i32_e32 vcc_lo, 31, v23
	v_lshlrev_b32_e32 v11, v11, v26
	v_and_or_b32 v1, 0x1ff, v2, v1
	s_delay_alu instid0(VALU_DEP_4) | instskip(SKIP_3) | instid1(VALU_DEP_3)
	v_lshl_or_b32 v13, v13, 9, 0x7c00
	v_cndmask_b32_e32 v12, 0x7c00, v21, vcc_lo
	v_cmp_eq_u32_e32 vcc_lo, 0x40f, v23
	v_lshrrev_b32_e32 v21, 8, v2
	v_cndmask_b32_e32 v13, v12, v13, vcc_lo
	v_cmp_ne_u32_e32 vcc_lo, v11, v24
	v_fma_f16 v12, v68, v27, -v15
	v_bfe_u32 v24, v2, 20, 11
	v_add_nc_u32_e32 v27, 0xfffffc10, v29
	v_and_or_b32 v10, 0x8000, v10, v13
	v_cndmask_b32_e64 v15, 0, 1, vcc_lo
	v_cmp_ne_u32_e32 vcc_lo, 0, v1
	v_cvt_f32_f16_e32 v23, v12
	v_mul_f64 v[11:12], v[19:20], s[8:9]
	v_lshl_or_b32 v22, v10, 16, v9
	v_or_b32_e32 v15, v26, v15
	v_cndmask_b32_e64 v1, 0, 1, vcc_lo
	v_cvt_f64_f32_e32 v[19:20], v23
	v_lshl_or_b32 v23, v27, 12, v5
	v_cmp_gt_i32_e32 vcc_lo, 1, v27
	v_cmp_eq_u32_e64 s1, 0x40f, v27
	v_and_or_b32 v1, 0xffe, v21, v1
	v_sub_nc_u32_e32 v21, 0x3f1, v24
	v_lshrrev_b32_e32 v2, 16, v2
	v_cndmask_b32_e32 v13, v23, v15, vcc_lo
	v_add_co_u32 v7, vcc_lo, v17, s3
	v_or_b32_e32 v26, 0x1000, v1
	v_med3_i32 v21, v21, 0, 13
	s_delay_alu instid0(VALU_DEP_4) | instskip(SKIP_2) | instid1(VALU_DEP_4)
	v_and_b32_e32 v9, 7, v13
	v_add_co_ci_u32_e32 v8, vcc_lo, s2, v18, vcc_lo
	v_lshrrev_b32_e32 v23, 16, v14
	v_lshrrev_b32_e32 v15, v21, v26
	s_delay_alu instid0(VALU_DEP_4) | instskip(SKIP_3) | instid1(VALU_DEP_2)
	v_cmp_lt_i32_e32 vcc_lo, 5, v9
	global_store_b32 v[7:8], v22, off
	v_lshlrev_b32_e32 v10, v21, v15
	v_add_nc_u32_e32 v21, 0xfffffc10, v24
	v_cmp_ne_u32_e64 s0, v10, v26
	s_delay_alu instid0(VALU_DEP_1)
	v_cndmask_b32_e64 v10, 0, 1, s0
	v_cmp_eq_u32_e64 s0, 3, v9
	v_lshrrev_b32_e32 v9, 2, v13
	v_lshl_or_b32 v13, v21, 12, v1
	v_and_or_b32 v11, 0x1ff, v12, v11
	v_or_b32_e32 v10, v15, v10
	s_or_b32 vcc_lo, s0, vcc_lo
	v_mul_f16_e32 v15, v71, v23
	v_add_co_ci_u32_e32 v24, vcc_lo, 0, v9, vcc_lo
	v_cmp_gt_i32_e32 vcc_lo, 1, v21
	v_bfe_u32 v25, v12, 20, 11
	s_delay_alu instid0(VALU_DEP_4) | instskip(SKIP_3) | instid1(VALU_DEP_4)
	v_fmac_f16_e32 v15, v66, v14
	v_cndmask_b32_e32 v13, v13, v10, vcc_lo
	v_cmp_ne_u32_e32 vcc_lo, 0, v5
	v_mul_f64 v[9:10], v[19:20], s[8:9]
	v_cvt_f32_f16_e32 v15, v15
	v_lshrrev_b32_e32 v20, 8, v12
	v_and_b32_e32 v19, 7, v13
	v_cndmask_b32_e64 v5, 0, 1, vcc_lo
	v_cmp_ne_u32_e32 vcc_lo, 0, v11
	v_cvt_f64_f32_e32 v[17:18], v15
	v_lshrrev_b32_e32 v13, 2, v13
	v_cmp_eq_u32_e64 s0, 3, v19
	v_lshl_or_b32 v5, v5, 9, 0x7c00
	v_cndmask_b32_e64 v11, 0, 1, vcc_lo
	v_cmp_gt_i32_e32 vcc_lo, 31, v27
	v_lshrrev_b32_e32 v12, 16, v12
	s_delay_alu instid0(VALU_DEP_3) | instskip(SKIP_3) | instid1(VALU_DEP_4)
	v_and_or_b32 v11, 0xffe, v20, v11
	v_sub_nc_u32_e32 v20, 0x3f1, v25
	v_cndmask_b32_e32 v15, 0x7c00, v24, vcc_lo
	v_cmp_lt_i32_e32 vcc_lo, 5, v19
	v_or_b32_e32 v19, 0x1000, v11
	s_delay_alu instid0(VALU_DEP_4) | instskip(NEXT) | instid1(VALU_DEP_4)
	v_med3_i32 v20, v20, 0, 13
	v_cndmask_b32_e64 v5, v15, v5, s1
	s_or_b32 vcc_lo, s0, vcc_lo
	v_add_co_ci_u32_e32 v13, vcc_lo, 0, v13, vcc_lo
	s_delay_alu instid0(VALU_DEP_3) | instskip(SKIP_2) | instid1(VALU_DEP_3)
	v_lshrrev_b32_e32 v15, v20, v19
	v_cmp_ne_u32_e32 vcc_lo, 0, v1
	v_and_or_b32 v24, 0x8000, v6, v5
	v_lshlrev_b32_e32 v5, v20, v15
	v_cndmask_b32_e64 v1, 0, 1, vcc_lo
	v_cmp_gt_i32_e32 vcc_lo, 31, v21
	s_delay_alu instid0(VALU_DEP_2)
	v_lshl_or_b32 v1, v1, 9, 0x7c00
	v_cndmask_b32_e32 v6, 0x7c00, v13, vcc_lo
	v_cmp_ne_u32_e32 vcc_lo, v5, v19
	v_and_or_b32 v9, 0x1ff, v10, v9
	v_mul_f16_e32 v13, v71, v14
	v_add_nc_u32_e32 v19, 0xfffffc10, v25
	v_cndmask_b32_e64 v5, 0, 1, vcc_lo
	v_cmp_eq_u32_e32 vcc_lo, 0x40f, v21
	s_delay_alu instid0(VALU_DEP_4) | instskip(NEXT) | instid1(VALU_DEP_4)
	v_fma_f16 v13, v66, v23, -v13
	v_lshl_or_b32 v20, v19, 12, v11
	v_lshrrev_b32_e32 v21, 8, v10
	v_or_b32_e32 v15, v15, v5
	v_cndmask_b32_e32 v1, v6, v1, vcc_lo
	v_cmp_ne_u32_e32 vcc_lo, 0, v9
	v_mul_f64 v[5:6], v[17:18], s[8:9]
	v_bfe_u32 v17, v10, 20, 11
	v_cvt_f32_f16_e32 v13, v13
	v_and_or_b32 v1, 0x8000, v2, v1
	v_cndmask_b32_e64 v9, 0, 1, vcc_lo
	v_cmp_gt_i32_e32 vcc_lo, 1, v19
	v_sub_nc_u32_e32 v18, 0x3f1, v17
	v_cvt_f64_f32_e32 v[13:14], v13
	v_and_b32_e32 v2, 0xffff, v24
	v_and_or_b32 v9, 0xffe, v21, v9
	v_cndmask_b32_e32 v15, v20, v15, vcc_lo
	v_med3_i32 v18, v18, 0, 13
	v_lshrrev_b32_e32 v23, 16, v16
	v_lshl_or_b32 v22, v1, 16, v2
	v_or_b32_e32 v21, 0x1000, v9
	v_and_b32_e32 v20, 7, v15
	v_add_co_u32 v1, s1, v7, s7
	v_lshrrev_b32_e32 v7, 2, v15
	v_add_co_ci_u32_e64 v2, s1, s6, v8, s1
	s_delay_alu instid0(VALU_DEP_4)
	v_cmp_lt_i32_e32 vcc_lo, 5, v20
	v_cmp_eq_u32_e64 s0, 3, v20
	v_lshrrev_b32_e32 v20, v18, v21
	v_add_nc_u32_e32 v17, 0xfffffc10, v17
	v_mul_f16_e32 v15, v69, v23
	v_lshrrev_b32_e32 v10, 16, v10
	s_or_b32 vcc_lo, s0, vcc_lo
	v_lshlrev_b32_e32 v8, v18, v20
	v_add_co_ci_u32_e32 v18, vcc_lo, 0, v7, vcc_lo
	v_fmac_f16_e32 v15, v64, v16
	global_store_b32 v[1:2], v22, off
	v_cmp_ne_u32_e32 vcc_lo, v8, v21
	v_lshl_or_b32 v21, v17, 12, v9
	v_add_co_u32 v1, s1, v1, s3
	v_cvt_f32_f16_e32 v15, v15
	v_cndmask_b32_e64 v7, 0, 1, vcc_lo
	v_cmp_ne_u32_e32 vcc_lo, 0, v11
	v_and_or_b32 v5, 0x1ff, v6, v5
	v_add_co_ci_u32_e64 v2, s1, s2, v2, s1
	s_delay_alu instid0(VALU_DEP_4)
	v_or_b32_e32 v20, v20, v7
	v_cndmask_b32_e64 v11, 0, 1, vcc_lo
	v_cmp_gt_i32_e32 vcc_lo, 1, v17
	v_mul_f64 v[7:8], v[13:14], s[8:9]
	v_cvt_f64_f32_e32 v[13:14], v15
	v_lshrrev_b32_e32 v15, 8, v6
	v_lshl_or_b32 v11, v11, 9, 0x7c00
	v_cndmask_b32_e32 v20, v21, v20, vcc_lo
	v_cmp_ne_u32_e32 vcc_lo, 0, v5
	v_bfe_u32 v21, v6, 20, 11
	s_delay_alu instid0(VALU_DEP_3) | instskip(SKIP_2) | instid1(VALU_DEP_3)
	v_and_b32_e32 v24, 7, v20
	v_cndmask_b32_e64 v5, 0, 1, vcc_lo
	v_cmp_gt_i32_e32 vcc_lo, 31, v19
	v_cmp_eq_u32_e64 s0, 3, v24
	s_delay_alu instid0(VALU_DEP_3) | instskip(SKIP_3) | instid1(VALU_DEP_3)
	v_and_or_b32 v5, 0xffe, v15, v5
	v_cndmask_b32_e32 v18, 0x7c00, v18, vcc_lo
	v_cmp_eq_u32_e32 vcc_lo, 0x40f, v19
	v_sub_nc_u32_e32 v15, 0x3f1, v21
	v_cndmask_b32_e32 v11, v18, v11, vcc_lo
	v_cmp_lt_i32_e32 vcc_lo, 5, v24
	v_or_b32_e32 v18, 0x1000, v5
	s_delay_alu instid0(VALU_DEP_4) | instskip(NEXT) | instid1(VALU_DEP_4)
	v_med3_i32 v15, v15, 0, 13
	v_and_or_b32 v19, 0x8000, v12, v11
	v_lshrrev_b32_e32 v11, 2, v20
	s_or_b32 vcc_lo, s0, vcc_lo
	v_mul_f16_e32 v12, v69, v16
	v_lshrrev_b32_e32 v20, v15, v18
	s_delay_alu instid0(VALU_DEP_3) | instskip(SKIP_1) | instid1(VALU_DEP_4)
	v_add_co_ci_u32_e32 v11, vcc_lo, 0, v11, vcc_lo
	v_cmp_ne_u32_e32 vcc_lo, 0, v9
	v_fma_f16 v12, v64, v23, -v12
	s_delay_alu instid0(VALU_DEP_4)
	v_lshlrev_b32_e32 v15, v15, v20
	v_and_or_b32 v7, 0x1ff, v8, v7
	v_mul_f64 v[13:14], v[13:14], s[8:9]
	v_cndmask_b32_e64 v9, 0, 1, vcc_lo
	v_cmp_gt_i32_e32 vcc_lo, 31, v17
	v_bfe_u32 v23, v8, 20, 11
	s_delay_alu instid0(VALU_DEP_3)
	v_lshl_or_b32 v9, v9, 9, 0x7c00
	v_cndmask_b32_e32 v16, 0x7c00, v11, vcc_lo
	v_cvt_f32_f16_e32 v11, v12
	v_cmp_ne_u32_e32 vcc_lo, v15, v18
	v_add_nc_u32_e32 v18, 0xfffffc10, v21
	v_add_nc_u32_e32 v21, 0x1800, v58
	s_delay_alu instid0(VALU_DEP_4) | instskip(SKIP_2) | instid1(VALU_DEP_2)
	v_cvt_f64_f32_e32 v[11:12], v11
	v_cndmask_b32_e64 v15, 0, 1, vcc_lo
	v_cmp_eq_u32_e32 vcc_lo, 0x40f, v17
	v_or_b32_e32 v17, v20, v15
	v_cndmask_b32_e32 v9, v16, v9, vcc_lo
	v_cmp_ne_u32_e32 vcc_lo, 0, v7
	ds_load_2addr_b32 v[15:16], v21 offset0:32 offset1:144
	v_lshl_or_b32 v20, v18, 12, v5
	v_lshrrev_b32_e32 v21, 8, v8
	v_and_or_b32 v9, 0x8000, v10, v9
	v_cndmask_b32_e64 v7, 0, 1, vcc_lo
	v_cmp_gt_i32_e32 vcc_lo, 1, v18
	v_and_b32_e32 v10, 0xffff, v19
	s_delay_alu instid0(VALU_DEP_3) | instskip(SKIP_2) | instid1(VALU_DEP_4)
	v_and_or_b32 v7, 0xffe, v21, v7
	v_cndmask_b32_e32 v17, v20, v17, vcc_lo
	v_sub_nc_u32_e32 v20, 0x3f1, v23
	v_lshl_or_b32 v22, v9, 16, v10
	s_delay_alu instid0(VALU_DEP_4) | instskip(NEXT) | instid1(VALU_DEP_4)
	v_or_b32_e32 v21, 0x1000, v7
	v_and_b32_e32 v19, 7, v17
	s_delay_alu instid0(VALU_DEP_4)
	v_med3_i32 v20, v20, 0, 13
	v_lshrrev_b32_e32 v9, 2, v17
	global_store_b32 v[1:2], v22, off
	v_cmp_lt_i32_e32 vcc_lo, 5, v19
	v_cmp_eq_u32_e64 s0, 3, v19
	v_lshrrev_b32_e32 v19, v20, v21
	s_waitcnt lgkmcnt(0)
	v_lshrrev_b32_e32 v24, 16, v15
	v_lshrrev_b32_e32 v27, 16, v16
	s_or_b32 vcc_lo, s0, vcc_lo
	v_lshlrev_b32_e32 v17, v20, v19
	s_delay_alu instid0(VALU_DEP_3) | instskip(SKIP_3) | instid1(VALU_DEP_4)
	v_mul_f16_e32 v20, v67, v24
	v_add_co_ci_u32_e32 v25, vcc_lo, 0, v9, vcc_lo
	v_mul_f64 v[9:10], v[11:12], s[8:9]
	v_and_or_b32 v11, 0x1ff, v14, v13
	v_fmac_f16_e32 v20, v62, v15
	v_cmp_ne_u32_e32 vcc_lo, v17, v21
	v_add_nc_u32_e32 v13, 0xfffffc10, v23
	v_lshrrev_b32_e32 v21, 8, v14
	v_bfe_u32 v23, v14, 20, 11
	v_cvt_f32_f16_e32 v17, v20
	v_cndmask_b32_e64 v12, 0, 1, vcc_lo
	v_cmp_ne_u32_e32 vcc_lo, 0, v11
	v_mul_f16_e32 v15, v67, v15
	v_lshrrev_b32_e32 v14, 16, v14
	s_delay_alu instid0(VALU_DEP_4)
	v_or_b32_e32 v19, v19, v12
	v_cndmask_b32_e64 v20, 0, 1, vcc_lo
	v_cvt_f64_f32_e32 v[11:12], v17
	v_cmp_ne_u32_e32 vcc_lo, 0, v5
	v_lshl_or_b32 v17, v13, 12, v7
	v_fma_f16 v15, v62, v24, -v15
	v_and_or_b32 v20, 0xffe, v21, v20
	v_sub_nc_u32_e32 v21, 0x3f1, v23
	v_cndmask_b32_e64 v5, 0, 1, vcc_lo
	v_cmp_gt_i32_e32 vcc_lo, 1, v13
	v_cvt_f32_f16_e32 v15, v15
	s_delay_alu instid0(VALU_DEP_4) | instskip(NEXT) | instid1(VALU_DEP_4)
	v_med3_i32 v21, v21, 0, 13
	v_lshl_or_b32 v5, v5, 9, 0x7c00
	v_cndmask_b32_e32 v17, v17, v19, vcc_lo
	v_cmp_gt_i32_e32 vcc_lo, 31, v18
	v_or_b32_e32 v19, 0x1000, v20
	s_delay_alu instid0(VALU_DEP_3) | instskip(SKIP_2) | instid1(VALU_DEP_4)
	v_and_b32_e32 v26, 7, v17
	v_cndmask_b32_e32 v25, 0x7c00, v25, vcc_lo
	v_cmp_eq_u32_e32 vcc_lo, 0x40f, v18
	v_lshrrev_b32_e32 v22, v21, v19
	s_delay_alu instid0(VALU_DEP_4)
	v_cmp_eq_u32_e64 s0, 3, v26
	v_and_or_b32 v9, 0x1ff, v10, v9
	v_cndmask_b32_e32 v18, v25, v5, vcc_lo
	v_cmp_lt_i32_e32 vcc_lo, 5, v26
	v_lshrrev_b32_e32 v25, 16, v6
	v_lshlrev_b32_e32 v5, v21, v22
	v_lshrrev_b32_e32 v6, 2, v17
	v_add_nc_u32_e32 v17, 0xfffffc10, v23
	s_or_b32 vcc_lo, s0, vcc_lo
	v_lshrrev_b32_e32 v23, 8, v10
	v_cmp_ne_u32_e64 s1, v5, v19
	v_add_co_ci_u32_e32 v19, vcc_lo, 0, v6, vcc_lo
	v_cmp_ne_u32_e32 vcc_lo, 0, v9
	v_and_or_b32 v18, 0x8000, v25, v18
	s_delay_alu instid0(VALU_DEP_4) | instskip(SKIP_2) | instid1(VALU_DEP_3)
	v_cndmask_b32_e64 v5, 0, 1, s1
	v_cndmask_b32_e64 v9, 0, 1, vcc_lo
	v_cmp_ne_u32_e32 vcc_lo, 0, v7
	v_or_b32_e32 v21, v22, v5
	v_lshl_or_b32 v22, v17, 12, v20
	v_mul_f64 v[5:6], v[11:12], s[8:9]
	v_cvt_f64_f32_e32 v[11:12], v15
	v_bfe_u32 v15, v10, 20, 11
	v_cndmask_b32_e64 v7, 0, 1, vcc_lo
	v_cmp_gt_i32_e32 vcc_lo, 1, v17
	v_and_or_b32 v9, 0xffe, v23, v9
	s_delay_alu instid0(VALU_DEP_3)
	v_lshl_or_b32 v7, v7, 9, 0x7c00
	v_cndmask_b32_e32 v21, v22, v21, vcc_lo
	v_sub_nc_u32_e32 v22, 0x3f1, v15
	v_cmp_gt_i32_e32 vcc_lo, 31, v13
	v_or_b32_e32 v24, 0x1000, v9
	v_add_nc_u32_e32 v15, 0xfffffc10, v15
	v_and_b32_e32 v23, 7, v21
	v_med3_i32 v22, v22, 0, 13
	v_cndmask_b32_e32 v19, 0x7c00, v19, vcc_lo
	v_cmp_eq_u32_e32 vcc_lo, 0x40f, v13
	v_lshrrev_b32_e32 v21, 2, v21
	v_cmp_eq_u32_e64 s0, 3, v23
	v_lshrrev_b32_e32 v26, v22, v24
	v_cndmask_b32_e32 v13, v19, v7, vcc_lo
	v_cmp_lt_i32_e32 vcc_lo, 5, v23
	v_add_nc_u32_e32 v7, 0xa00, v58
	v_lshrrev_b32_e32 v19, 16, v8
	v_lshlrev_b32_e32 v22, v22, v26
	s_or_b32 vcc_lo, s0, vcc_lo
	ds_load_2addr_b32 v[7:8], v7 offset0:32 offset1:144
	v_and_or_b32 v13, 0x8000, v19, v13
	v_add_co_ci_u32_e32 v19, vcc_lo, 0, v21, vcc_lo
	v_cmp_ne_u32_e32 vcc_lo, v22, v24
	v_and_b32_e32 v22, 0xffff, v18
	v_cndmask_b32_e64 v21, 0, 1, vcc_lo
	v_cmp_gt_i32_e32 vcc_lo, 31, v17
	v_and_or_b32 v5, 0x1ff, v6, v5
	v_mul_f64 v[11:12], v[11:12], s[8:9]
	v_bfe_u32 v25, v6, 20, 11
	v_lshl_or_b32 v22, v13, 16, v22
	v_cndmask_b32_e32 v18, 0x7c00, v19, vcc_lo
	v_cmp_ne_u32_e32 vcc_lo, 0, v20
	v_or_b32_e32 v19, v26, v21
	v_lshl_or_b32 v21, v15, 12, v9
	s_waitcnt lgkmcnt(0)
	v_lshrrev_b32_e32 v23, 16, v7
	v_cndmask_b32_e64 v20, 0, 1, vcc_lo
	v_cmp_gt_i32_e32 vcc_lo, 1, v15
	s_delay_alu instid0(VALU_DEP_3) | instskip(NEXT) | instid1(VALU_DEP_3)
	v_mul_f16_e32 v24, v65, v23
	v_lshl_or_b32 v20, v20, 9, 0x7c00
	v_cndmask_b32_e32 v19, v21, v19, vcc_lo
	v_cmp_ne_u32_e32 vcc_lo, 0, v5
	v_lshrrev_b32_e32 v21, 8, v6
	v_fmac_f16_e32 v24, v60, v7
	v_mul_f16_e32 v7, v65, v7
	v_and_b32_e32 v26, 7, v19
	v_cndmask_b32_e64 v5, 0, 1, vcc_lo
	v_cmp_eq_u32_e32 vcc_lo, 0x40f, v17
	v_cvt_f32_f16_e32 v17, v24
	v_lshrrev_b32_e32 v19, 2, v19
	v_cmp_eq_u32_e64 s0, 3, v26
	v_and_or_b32 v5, 0xffe, v21, v5
	v_sub_nc_u32_e32 v21, 0x3f1, v25
	v_cndmask_b32_e32 v20, v18, v20, vcc_lo
	v_cmp_lt_i32_e32 vcc_lo, 5, v26
	v_cvt_f64_f32_e32 v[17:18], v17
	v_or_b32_e32 v24, 0x1000, v5
	v_med3_i32 v21, v21, 0, 13
	v_fma_f16 v7, v60, v23, -v7
	s_or_b32 vcc_lo, s0, vcc_lo
	v_and_or_b32 v20, 0x8000, v14, v20
	v_add_co_ci_u32_e32 v19, vcc_lo, 0, v19, vcc_lo
	v_lshrrev_b32_e32 v26, v21, v24
	v_cmp_gt_i32_e32 vcc_lo, 31, v15
	v_and_or_b32 v11, 0x1ff, v12, v11
	v_cvt_f32_f16_e32 v7, v7
	v_lshrrev_b32_e32 v6, 16, v6
	v_lshlrev_b32_e32 v13, v21, v26
	v_cndmask_b32_e32 v19, 0x7c00, v19, vcc_lo
	v_add_nc_u32_e32 v21, 0xfffffc10, v25
	v_lshrrev_b32_e32 v25, 8, v12
	s_delay_alu instid0(VALU_DEP_4) | instskip(NEXT) | instid1(VALU_DEP_3)
	v_cmp_ne_u32_e32 vcc_lo, v13, v24
	v_lshl_or_b32 v24, v21, 12, v5
	v_cndmask_b32_e64 v13, 0, 1, vcc_lo
	v_cmp_ne_u32_e32 vcc_lo, 0, v9
	s_delay_alu instid0(VALU_DEP_2)
	v_or_b32_e32 v23, v26, v13
	v_cndmask_b32_e64 v9, 0, 1, vcc_lo
	v_cmp_ne_u32_e32 vcc_lo, 0, v11
	v_bfe_u32 v26, v12, 20, 11
	v_cvt_f64_f32_e32 v[13:14], v7
	v_lshrrev_b32_e32 v12, 16, v12
	v_lshl_or_b32 v7, v9, 9, 0x7c00
	v_cndmask_b32_e64 v11, 0, 1, vcc_lo
	v_cmp_gt_i32_e32 vcc_lo, 1, v21
	v_sub_nc_u32_e32 v9, 0x3f1, v26
	s_delay_alu instid0(VALU_DEP_3)
	v_and_or_b32 v11, 0xffe, v25, v11
	v_cndmask_b32_e32 v23, v24, v23, vcc_lo
	v_cmp_eq_u32_e32 vcc_lo, 0x40f, v15
	v_lshrrev_b32_e32 v15, 16, v10
	v_med3_i32 v25, v9, 0, 13
	v_or_b32_e32 v24, 0x1000, v11
	v_mul_f64 v[9:10], v[17:18], s[8:9]
	v_cndmask_b32_e32 v7, v19, v7, vcc_lo
	v_and_b32_e32 v19, 7, v23
	v_add_co_u32 v1, vcc_lo, v1, s7
	v_lshrrev_b32_e32 v17, v25, v24
	s_delay_alu instid0(VALU_DEP_4) | instskip(SKIP_4) | instid1(VALU_DEP_4)
	v_and_or_b32 v7, 0x8000, v15, v7
	v_and_b32_e32 v15, 0xffff, v20
	v_add_co_ci_u32_e32 v2, vcc_lo, s6, v2, vcc_lo
	v_cmp_lt_i32_e32 vcc_lo, 5, v19
	v_cmp_eq_u32_e64 s0, 3, v19
	v_lshl_or_b32 v7, v7, 16, v15
	v_lshrrev_b32_e32 v15, 2, v23
	v_lshlrev_b32_e32 v18, v25, v17
	v_mul_f16_e32 v19, v63, v27
	s_or_b32 vcc_lo, s0, vcc_lo
	v_add_nc_u32_e32 v23, 0xfffffc10, v26
	v_add_co_ci_u32_e32 v15, vcc_lo, 0, v15, vcc_lo
	v_cmp_ne_u32_e32 vcc_lo, v18, v24
	v_fmac_f16_e32 v19, v57, v16
	v_mul_f64 v[13:14], v[13:14], s[8:9]
	v_cndmask_b32_e64 v18, 0, 1, vcc_lo
	v_cmp_ne_u32_e32 vcc_lo, 0, v5
	s_delay_alu instid0(VALU_DEP_4) | instskip(NEXT) | instid1(VALU_DEP_3)
	v_cvt_f32_f16_e32 v19, v19
	v_or_b32_e32 v17, v17, v18
	v_cndmask_b32_e64 v5, 0, 1, vcc_lo
	v_cmp_gt_i32_e32 vcc_lo, 31, v21
	v_lshl_or_b32 v18, v23, 12, v11
	s_delay_alu instid0(VALU_DEP_3)
	v_lshl_or_b32 v5, v5, 9, 0x7c00
	v_cndmask_b32_e32 v15, 0x7c00, v15, vcc_lo
	v_cmp_gt_i32_e32 vcc_lo, 1, v23
	v_and_or_b32 v9, 0x1ff, v10, v9
	v_cndmask_b32_e32 v24, v18, v17, vcc_lo
	v_cvt_f64_f32_e32 v[17:18], v19
	v_add_co_u32 v19, vcc_lo, v1, s3
	v_add_co_ci_u32_e32 v20, vcc_lo, s2, v2, vcc_lo
	v_cmp_eq_u32_e32 vcc_lo, 0x40f, v21
	v_and_b32_e32 v25, 7, v24
	v_cmp_ne_u32_e64 s0, 0, v9
	v_bfe_u32 v21, v10, 20, 11
	global_store_b32 v[1:2], v22, off
	global_store_b32 v[19:20], v7, off
	v_cndmask_b32_e32 v5, v15, v5, vcc_lo
	v_cmp_lt_i32_e32 vcc_lo, 5, v25
	v_cndmask_b32_e64 v9, 0, 1, s0
	v_cmp_eq_u32_e64 s0, 3, v25
	v_lshrrev_b32_e32 v15, 8, v10
	v_and_or_b32 v25, 0x8000, v6, v5
	v_lshrrev_b32_e32 v5, 2, v24
	v_sub_nc_u32_e32 v6, 0x3f1, v21
	s_or_b32 vcc_lo, s0, vcc_lo
	v_and_or_b32 v9, 0xffe, v15, v9
	v_mul_f16_e32 v15, v63, v16
	v_add_co_ci_u32_e32 v5, vcc_lo, 0, v5, vcc_lo
	v_cmp_ne_u32_e32 vcc_lo, 0, v11
	s_delay_alu instid0(VALU_DEP_4)
	v_or_b32_e32 v24, 0x1000, v9
	v_med3_i32 v6, v6, 0, 13
	v_and_or_b32 v13, 0x1ff, v14, v13
	v_fma_f16 v15, v57, v27, -v15
	v_cndmask_b32_e64 v11, 0, 1, vcc_lo
	v_cmp_gt_i32_e32 vcc_lo, 31, v23
	v_lshrrev_b32_e32 v26, v6, v24
	v_lshrrev_b32_e32 v27, 8, v14
	v_cvt_f32_f16_e32 v15, v15
	v_lshl_or_b32 v11, v11, 9, 0x7c00
	v_cndmask_b32_e32 v5, 0x7c00, v5, vcc_lo
	v_cmp_eq_u32_e32 vcc_lo, 0x40f, v23
	v_lshlrev_b32_e32 v23, v6, v26
	v_cvt_f64_f32_e32 v[15:16], v15
	v_add_nc_u32_e32 v21, 0xfffffc10, v21
	v_cndmask_b32_e32 v11, v5, v11, vcc_lo
	v_cmp_ne_u32_e32 vcc_lo, 0, v13
	v_mul_f64 v[5:6], v[17:18], s[8:9]
	v_bfe_u32 v17, v14, 20, 11
	v_lshrrev_b32_e32 v14, 16, v14
	v_and_or_b32 v11, 0x8000, v12, v11
	v_cndmask_b32_e64 v13, 0, 1, vcc_lo
	v_cmp_ne_u32_e32 vcc_lo, v23, v24
	v_sub_nc_u32_e32 v23, 0x3f1, v17
	v_lshl_or_b32 v24, v21, 12, v9
	v_and_b32_e32 v12, 0xffff, v25
	v_and_or_b32 v13, 0xffe, v27, v13
	v_cndmask_b32_e64 v18, 0, 1, vcc_lo
	v_med3_i32 v23, v23, 0, 13
	v_cmp_gt_i32_e32 vcc_lo, 1, v21
	v_lshl_or_b32 v22, v11, 16, v12
	v_add_nc_u32_e32 v17, 0xfffffc10, v17
	v_or_b32_e32 v18, v26, v18
	v_or_b32_e32 v26, 0x1000, v13
	s_delay_alu instid0(VALU_DEP_2) | instskip(NEXT) | instid1(VALU_DEP_2)
	v_cndmask_b32_e32 v18, v24, v18, vcc_lo
	v_lshrrev_b32_e32 v24, v23, v26
	v_add_co_u32 v1, vcc_lo, v19, s7
	v_add_co_ci_u32_e32 v2, vcc_lo, s6, v20, vcc_lo
	s_delay_alu instid0(VALU_DEP_3) | instskip(SKIP_3) | instid1(VALU_DEP_4)
	v_lshlrev_b32_e32 v11, v23, v24
	v_and_b32_e32 v7, 7, v18
	v_lshl_or_b32 v19, v17, 12, v13
	v_lshrrev_b32_e32 v20, 16, v8
	v_cmp_ne_u32_e64 s1, v11, v26
	s_delay_alu instid0(VALU_DEP_4) | instskip(SKIP_2) | instid1(VALU_DEP_4)
	v_cmp_lt_i32_e32 vcc_lo, 5, v7
	v_cmp_eq_u32_e64 s0, 3, v7
	v_lshrrev_b32_e32 v7, 2, v18
	v_cndmask_b32_e64 v11, 0, 1, s1
	s_delay_alu instid0(VALU_DEP_3) | instskip(SKIP_1) | instid1(VALU_DEP_3)
	s_or_b32 vcc_lo, s0, vcc_lo
	v_and_or_b32 v5, 0x1ff, v6, v5
	v_add_co_ci_u32_e32 v7, vcc_lo, 0, v7, vcc_lo
	s_delay_alu instid0(VALU_DEP_3)
	v_or_b32_e32 v18, v24, v11
	v_cmp_gt_i32_e32 vcc_lo, 1, v17
	v_mul_f64 v[11:12], v[15:16], s[8:9]
	v_lshrrev_b32_e32 v15, 8, v6
	v_mul_f16_e32 v16, v61, v20
	v_cndmask_b32_e32 v18, v19, v18, vcc_lo
	v_cmp_ne_u32_e32 vcc_lo, 0, v5
	v_bfe_u32 v19, v6, 20, 11
	s_delay_alu instid0(VALU_DEP_4)
	v_fmac_f16_e32 v16, v55, v8
	v_mul_f16_e32 v8, v61, v8
	v_and_b32_e32 v23, 7, v18
	v_cndmask_b32_e64 v5, 0, 1, vcc_lo
	v_cmp_gt_i32_e32 vcc_lo, 31, v21
	v_lshrrev_b32_e32 v18, 2, v18
	v_cvt_f32_f16_e32 v16, v16
	v_cmp_eq_u32_e64 s0, 3, v23
	v_and_or_b32 v5, 0xffe, v15, v5
	v_cndmask_b32_e32 v7, 0x7c00, v7, vcc_lo
	v_cmp_ne_u32_e32 vcc_lo, 0, v9
	v_sub_nc_u32_e32 v15, 0x3f1, v19
	v_fma_f16 v8, v55, v20, -v8
	v_or_b32_e32 v24, 0x1000, v5
	v_add_nc_u32_e32 v19, 0xfffffc10, v19
	v_cndmask_b32_e64 v9, 0, 1, vcc_lo
	v_cmp_lt_i32_e32 vcc_lo, 5, v23
	v_med3_i32 v25, v15, 0, 13
	v_cvt_f64_f32_e32 v[15:16], v16
	s_delay_alu instid0(VALU_DEP_4) | instskip(SKIP_1) | instid1(VALU_DEP_3)
	v_lshl_or_b32 v9, v9, 9, 0x7c00
	s_or_b32 vcc_lo, s0, vcc_lo
	v_lshrrev_b32_e32 v23, v25, v24
	v_add_co_ci_u32_e32 v18, vcc_lo, 0, v18, vcc_lo
	v_cmp_eq_u32_e32 vcc_lo, 0x40f, v21
	v_cndmask_b32_e32 v21, v7, v9, vcc_lo
	s_delay_alu instid0(VALU_DEP_4)
	v_lshlrev_b32_e32 v7, v25, v23
	v_cmp_gt_i32_e32 vcc_lo, 31, v17
	v_and_or_b32 v9, 0x1ff, v12, v11
	v_lshrrev_b32_e32 v25, 16, v10
	v_lshrrev_b32_e32 v20, 8, v12
	v_cndmask_b32_e32 v18, 0x7c00, v18, vcc_lo
	v_cmp_ne_u32_e32 vcc_lo, v7, v24
	v_add_nc_u32_e32 v24, 0x1c00, v58
	v_cndmask_b32_e64 v7, 0, 1, vcc_lo
	v_cmp_ne_u32_e32 vcc_lo, 0, v13
	v_lshl_or_b32 v13, v19, 12, v5
	s_delay_alu instid0(VALU_DEP_3)
	v_or_b32_e32 v11, v23, v7
	v_cndmask_b32_e64 v10, 0, 1, vcc_lo
	v_cvt_f32_f16_e32 v7, v8
	v_cmp_ne_u32_e32 vcc_lo, 0, v9
	v_bfe_u32 v23, v12, 20, 11
	v_lshrrev_b32_e32 v12, 16, v12
	s_delay_alu instid0(VALU_DEP_4) | instskip(SKIP_3) | instid1(VALU_DEP_3)
	v_cvt_f64_f32_e32 v[7:8], v7
	v_cndmask_b32_e64 v9, 0, 1, vcc_lo
	v_cmp_gt_i32_e32 vcc_lo, 1, v19
	v_cndmask_b32_e32 v11, v13, v11, vcc_lo
	v_and_or_b32 v13, 0xffe, v20, v9
	v_sub_nc_u32_e32 v9, 0x3f1, v23
	v_lshl_or_b32 v20, v10, 9, 0x7c00
	v_cmp_eq_u32_e32 vcc_lo, 0x40f, v17
	v_and_b32_e32 v26, 7, v11
	v_or_b32_e32 v27, 0x1000, v13
	v_med3_i32 v28, v9, 0, 13
	v_mul_f64 v[9:10], v[15:16], s[8:9]
	v_cndmask_b32_e32 v17, v18, v20, vcc_lo
	v_cmp_lt_i32_e32 vcc_lo, 5, v26
	v_cmp_eq_u32_e64 s0, 3, v26
	v_lshrrev_b32_e32 v20, v28, v27
	ds_load_2addr_b32 v[15:16], v24 offset1:112
	v_lshrrev_b32_e32 v11, 2, v11
	v_and_or_b32 v14, 0x8000, v14, v17
	s_or_b32 vcc_lo, s0, vcc_lo
	v_lshlrev_b32_e32 v17, v28, v20
	v_and_or_b32 v18, 0x8000, v25, v21
	v_add_co_ci_u32_e32 v11, vcc_lo, 0, v11, vcc_lo
	v_add_nc_u32_e32 v21, 0xfffffc10, v23
	s_delay_alu instid0(VALU_DEP_4) | instskip(NEXT) | instid1(VALU_DEP_4)
	v_cmp_ne_u32_e32 vcc_lo, v17, v27
	v_and_b32_e32 v18, 0xffff, v18
	v_cndmask_b32_e64 v17, 0, 1, vcc_lo
	v_cmp_gt_i32_e32 vcc_lo, 31, v19
	v_mul_f64 v[7:8], v[7:8], s[8:9]
	s_delay_alu instid0(VALU_DEP_3)
	v_or_b32_e32 v17, v20, v17
	v_cndmask_b32_e32 v11, 0x7c00, v11, vcc_lo
	v_cmp_ne_u32_e32 vcc_lo, 0, v5
	s_waitcnt lgkmcnt(0)
	v_lshrrev_b32_e32 v23, 16, v15
	v_lshl_or_b32 v20, v21, 12, v13
	v_cndmask_b32_e64 v5, 0, 1, vcc_lo
	v_cmp_gt_i32_e32 vcc_lo, 1, v21
	s_delay_alu instid0(VALU_DEP_4) | instskip(NEXT) | instid1(VALU_DEP_3)
	v_mul_f16_e32 v24, v59, v23
	v_lshl_or_b32 v5, v5, 9, 0x7c00
	v_cndmask_b32_e32 v17, v20, v17, vcc_lo
	s_delay_alu instid0(VALU_DEP_3)
	v_fmac_f16_e32 v24, v53, v15
	v_cmp_eq_u32_e32 vcc_lo, 0x40f, v19
	v_lshl_or_b32 v20, v14, 16, v18
	v_and_or_b32 v9, 0x1ff, v10, v9
	v_and_b32_e32 v14, 7, v17
	v_lshrrev_b32_e32 v18, 16, v6
	v_cndmask_b32_e32 v11, v11, v5, vcc_lo
	v_cvt_f32_f16_e32 v5, v24
	v_cmp_ne_u32_e64 s1, 0, v9
	v_cmp_lt_i32_e32 vcc_lo, 5, v14
	v_cmp_eq_u32_e64 s0, 3, v14
	v_lshrrev_b32_e32 v14, 2, v17
	v_cvt_f64_f32_e32 v[5:6], v5
	v_cndmask_b32_e64 v9, 0, 1, s1
	v_lshrrev_b32_e32 v17, 8, v10
	s_or_b32 vcc_lo, s0, vcc_lo
	v_bfe_u32 v19, v10, 20, 11
	v_add_co_ci_u32_e32 v14, vcc_lo, 0, v14, vcc_lo
	v_cmp_ne_u32_e32 vcc_lo, 0, v13
	v_and_or_b32 v9, 0xffe, v17, v9
	s_delay_alu instid0(VALU_DEP_4)
	v_sub_nc_u32_e32 v17, 0x3f1, v19
	v_mul_f16_e32 v15, v59, v15
	v_and_or_b32 v7, 0x1ff, v8, v7
	v_cndmask_b32_e64 v13, 0, 1, vcc_lo
	v_cmp_gt_i32_e32 vcc_lo, 31, v21
	v_or_b32_e32 v24, 0x1000, v9
	v_med3_i32 v17, v17, 0, 13
	v_fma_f16 v15, v53, v23, -v15
	v_lshl_or_b32 v13, v13, 9, 0x7c00
	v_cndmask_b32_e32 v14, 0x7c00, v14, vcc_lo
	v_cmp_eq_u32_e32 vcc_lo, 0x40f, v21
	v_and_or_b32 v11, 0x8000, v18, v11
	v_cvt_f32_f16_e32 v15, v15
	v_bfe_u32 v23, v8, 20, 11
	v_add_nc_u32_e32 v19, 0xfffffc10, v19
	v_cndmask_b32_e32 v13, v14, v13, vcc_lo
	v_lshrrev_b32_e32 v14, v17, v24
	v_cmp_ne_u32_e32 vcc_lo, 0, v7
	v_and_b32_e32 v21, 0xffff, v11
	v_lshrrev_b32_e32 v10, 16, v10
	v_and_or_b32 v18, 0x8000, v12, v13
	v_lshlrev_b32_e32 v13, v17, v14
	v_cvt_f64_f32_e32 v[11:12], v15
	v_cndmask_b32_e64 v7, 0, 1, vcc_lo
	v_lshrrev_b32_e32 v15, 8, v8
	v_lshl_or_b32 v21, v18, 16, v21
	v_cmp_ne_u32_e32 vcc_lo, v13, v24
	v_lshl_or_b32 v24, v19, 12, v9
	s_delay_alu instid0(VALU_DEP_4) | instskip(SKIP_3) | instid1(VALU_DEP_4)
	v_and_or_b32 v7, 0xffe, v15, v7
	v_sub_nc_u32_e32 v15, 0x3f1, v23
	v_cndmask_b32_e64 v13, 0, 1, vcc_lo
	v_mul_f64 v[5:6], v[5:6], s[8:9]
	v_or_b32_e32 v25, 0x1000, v7
	s_delay_alu instid0(VALU_DEP_4) | instskip(NEXT) | instid1(VALU_DEP_4)
	v_med3_i32 v15, v15, 0, 13
	v_or_b32_e32 v17, v14, v13
	v_add_co_u32 v13, vcc_lo, v1, s3
	v_add_co_ci_u32_e32 v14, vcc_lo, s2, v2, vcc_lo
	v_cmp_gt_i32_e32 vcc_lo, 1, v19
	v_lshrrev_b32_e32 v26, v15, v25
	s_delay_alu instid0(VALU_DEP_1) | instskip(SKIP_2) | instid1(VALU_DEP_3)
	v_dual_cndmask_b32 v24, v24, v17 :: v_dual_lshlrev_b32 v15, v15, v26
	v_add_co_u32 v17, vcc_lo, v13, s7
	v_add_co_ci_u32_e32 v18, vcc_lo, s6, v14, vcc_lo
	v_and_b32_e32 v27, 7, v24
	s_delay_alu instid0(VALU_DEP_4)
	v_cmp_ne_u32_e64 s0, v15, v25
	global_store_b32 v[1:2], v22, off
	global_store_b32 v[13:14], v20, off
	;; [unrolled: 1-line block ×3, first 2 shown]
	v_lshrrev_b32_e32 v15, 2, v24
	v_add_nc_u32_e32 v14, 0xfffffc10, v23
	v_cmp_lt_i32_e32 vcc_lo, 5, v27
	v_cndmask_b32_e64 v13, 0, 1, s0
	v_cmp_eq_u32_e64 s0, 3, v27
	v_mul_f64 v[1:2], v[11:12], s[8:9]
	v_lshl_or_b32 v12, v14, 12, v7
	s_delay_alu instid0(VALU_DEP_4) | instskip(NEXT) | instid1(VALU_DEP_4)
	v_or_b32_e32 v11, v26, v13
	s_or_b32 vcc_lo, s0, vcc_lo
	v_add_co_ci_u32_e32 v13, vcc_lo, 0, v15, vcc_lo
	v_cmp_ne_u32_e32 vcc_lo, 0, v9
	v_lshrrev_b32_e32 v15, 16, v0
	v_and_or_b32 v5, 0x1ff, v6, v5
	v_lshrrev_b32_e32 v21, 8, v6
	v_bfe_u32 v22, v6, 20, 11
	v_cndmask_b32_e64 v9, 0, 1, vcc_lo
	v_cmp_gt_i32_e32 vcc_lo, 1, v14
	v_mul_f16_e32 v20, v56, v15
	s_delay_alu instid0(VALU_DEP_3) | instskip(SKIP_2) | instid1(VALU_DEP_4)
	v_lshl_or_b32 v9, v9, 9, 0x7c00
	v_cndmask_b32_e32 v11, v12, v11, vcc_lo
	v_cmp_gt_i32_e32 vcc_lo, 31, v19
	v_fmac_f16_e32 v20, v52, v0
	v_mul_f16_e32 v0, v56, v0
	v_cndmask_b32_e32 v12, 0x7c00, v13, vcc_lo
	v_cmp_ne_u32_e32 vcc_lo, 0, v5
	v_and_b32_e32 v13, 7, v11
	s_delay_alu instid0(VALU_DEP_4) | instskip(SKIP_2) | instid1(VALU_DEP_4)
	v_fma_f16 v0, v52, v15, -v0
	v_cndmask_b32_e64 v5, 0, 1, vcc_lo
	v_cmp_eq_u32_e32 vcc_lo, 0x40f, v19
	v_cmp_eq_u32_e64 s0, 3, v13
	v_cvt_f32_f16_e32 v19, v20
	v_cvt_f32_f16_e32 v0, v0
	v_and_or_b32 v5, 0xffe, v21, v5
	v_cndmask_b32_e32 v9, v12, v9, vcc_lo
	v_sub_nc_u32_e32 v12, 0x3f1, v22
	v_cmp_lt_i32_e32 vcc_lo, 5, v13
	v_lshrrev_b32_e32 v13, 2, v11
	v_or_b32_e32 v20, 0x1000, v5
	v_and_or_b32 v1, 0x1ff, v2, v1
	v_med3_i32 v21, v12, 0, 13
	s_or_b32 vcc_lo, s0, vcc_lo
	v_cvt_f64_f32_e32 v[11:12], v19
	v_add_co_ci_u32_e32 v13, vcc_lo, 0, v13, vcc_lo
	s_delay_alu instid0(VALU_DEP_3)
	v_lshrrev_b32_e32 v19, v21, v20
	v_cmp_ne_u32_e32 vcc_lo, 0, v7
	v_lshrrev_b32_e32 v23, 8, v2
	v_bfe_u32 v15, v2, 20, 11
	v_and_or_b32 v9, 0x8000, v10, v9
	v_lshlrev_b32_e32 v21, v21, v19
	v_cndmask_b32_e64 v7, 0, 1, vcc_lo
	v_cmp_ne_u32_e32 vcc_lo, 0, v1
	v_lshrrev_b32_e32 v2, 16, v2
	v_and_b32_e32 v9, 0xffff, v9
	s_delay_alu instid0(VALU_DEP_4) | instskip(SKIP_3) | instid1(VALU_DEP_3)
	v_lshl_or_b32 v7, v7, 9, 0x7c00
	v_cndmask_b32_e64 v1, 0, 1, vcc_lo
	v_cmp_ne_u32_e32 vcc_lo, v21, v20
	v_add_nc_u32_e32 v21, 0xfffffc10, v22
	v_and_or_b32 v22, 0xffe, v23, v1
	v_cndmask_b32_e64 v20, 0, 1, vcc_lo
	v_sub_nc_u32_e32 v23, 0x3f1, v15
	v_cmp_gt_i32_e32 vcc_lo, 31, v14
	v_cvt_f64_f32_e32 v[0:1], v0
	v_or_b32_e32 v24, 0x1000, v22
	v_or_b32_e32 v19, v19, v20
	v_lshl_or_b32 v20, v21, 12, v5
	v_med3_i32 v23, v23, 0, 13
	v_cndmask_b32_e32 v13, 0x7c00, v13, vcc_lo
	v_cmp_gt_i32_e32 vcc_lo, 1, v21
	v_add_nc_u32_e32 v15, 0xfffffc10, v15
	v_cndmask_b32_e32 v19, v20, v19, vcc_lo
	v_lshrrev_b32_e32 v20, v23, v24
	v_cmp_eq_u32_e32 vcc_lo, 0x40f, v14
	v_lshrrev_b32_e32 v14, 16, v8
	s_delay_alu instid0(VALU_DEP_4) | instskip(NEXT) | instid1(VALU_DEP_4)
	v_and_b32_e32 v25, 7, v19
	v_lshlrev_b32_e32 v23, v23, v20
	v_cndmask_b32_e32 v13, v13, v7, vcc_lo
	v_mul_f64 v[7:8], v[11:12], s[8:9]
	v_lshrrev_b32_e32 v12, 2, v19
	v_cmp_lt_i32_e32 vcc_lo, 5, v25
	v_cmp_ne_u32_e64 s0, v23, v24
	v_and_or_b32 v10, 0x8000, v14, v13
	v_lshl_or_b32 v13, v15, 12, v22
	v_lshrrev_b32_e32 v14, 16, v16
	s_delay_alu instid0(VALU_DEP_4) | instskip(SKIP_2) | instid1(VALU_DEP_3)
	v_cndmask_b32_e64 v11, 0, 1, s0
	v_cmp_eq_u32_e64 s0, 3, v25
	v_lshl_or_b32 v19, v10, 16, v9
	v_or_b32_e32 v11, v20, v11
	s_delay_alu instid0(VALU_DEP_3)
	s_or_b32 vcc_lo, s0, vcc_lo
	v_add_co_ci_u32_e32 v12, vcc_lo, 0, v12, vcc_lo
	v_cmp_ne_u32_e32 vcc_lo, 0, v5
	v_mul_f64 v[0:1], v[0:1], s[8:9]
	v_cndmask_b32_e64 v5, 0, 1, vcc_lo
	v_cmp_gt_i32_e32 vcc_lo, 1, v15
	s_delay_alu instid0(VALU_DEP_2) | instskip(SKIP_2) | instid1(VALU_DEP_2)
	v_lshl_or_b32 v5, v5, 9, 0x7c00
	v_cndmask_b32_e32 v11, v13, v11, vcc_lo
	v_cmp_gt_i32_e32 vcc_lo, 31, v21
	v_dual_cndmask_b32 v12, 0x7c00, v12 :: v_dual_and_b32 v13, 7, v11
	v_add_co_u32 v9, vcc_lo, v17, s3
	v_add_co_ci_u32_e32 v10, vcc_lo, s2, v18, vcc_lo
	v_cmp_eq_u32_e32 vcc_lo, 0x40f, v21
	s_delay_alu instid0(VALU_DEP_4)
	v_cmp_eq_u32_e64 s0, 3, v13
	v_lshrrev_b32_e32 v18, 16, v6
	v_lshrrev_b32_e32 v6, 2, v11
	v_and_or_b32 v7, 0x1ff, v8, v7
	v_cndmask_b32_e32 v17, v12, v5, vcc_lo
	v_cmp_lt_i32_e32 vcc_lo, 5, v13
	v_mul_f16_e32 v5, v54, v14
	v_lshrrev_b32_e32 v12, 8, v8
	v_bfe_u32 v20, v8, 20, 11
	v_mul_f16_e32 v13, v54, v16
	s_or_b32 vcc_lo, s0, vcc_lo
	v_fmac_f16_e32 v5, v51, v16
	v_add_co_ci_u32_e32 v11, vcc_lo, 0, v6, vcc_lo
	v_cmp_ne_u32_e32 vcc_lo, 0, v7
	v_and_or_b32 v17, 0x8000, v18, v17
	s_delay_alu instid0(VALU_DEP_4) | instskip(SKIP_3) | instid1(VALU_DEP_4)
	v_cvt_f32_f16_e32 v5, v5
	v_and_or_b32 v24, 0x1ff, v1, v0
	v_cndmask_b32_e64 v7, 0, 1, vcc_lo
	v_cmp_ne_u32_e32 vcc_lo, 0, v22
	v_cvt_f64_f32_e32 v[5:6], v5
	v_and_b32_e32 v17, 0xffff, v17
	s_delay_alu instid0(VALU_DEP_4)
	v_and_or_b32 v7, 0xffe, v12, v7
	v_fma_f16 v12, v51, v14, -v13
	v_sub_nc_u32_e32 v13, 0x3f1, v20
	v_cndmask_b32_e64 v16, 0, 1, vcc_lo
	v_cmp_gt_i32_e32 vcc_lo, 31, v15
	v_or_b32_e32 v22, 0x1000, v7
	v_cvt_f32_f16_e32 v14, v12
	v_med3_i32 v23, v13, 0, 13
	v_lshl_or_b32 v16, v16, 9, 0x7c00
	v_cndmask_b32_e32 v21, 0x7c00, v11, vcc_lo
	v_mad_u64_u32 v[11:12], null, s4, v50, 0
	v_cvt_f64_f32_e32 v[13:14], v14
	v_lshrrev_b32_e32 v18, v23, v22
	v_cmp_eq_u32_e32 vcc_lo, 0x40f, v15
	v_add_nc_u32_e32 v20, 0xfffffc10, v20
	v_dual_mov_b32 v0, v12 :: v_dual_cndmask_b32 v21, v21, v16
	s_delay_alu instid0(VALU_DEP_4)
	v_lshlrev_b32_e32 v12, v23, v18
	v_cmp_ne_u32_e32 vcc_lo, 0, v24
	v_lshrrev_b32_e32 v16, 8, v1
	v_bfe_u32 v23, v1, 20, 11
	v_and_or_b32 v2, 0x8000, v2, v21
	v_cndmask_b32_e64 v15, 0, 1, vcc_lo
	v_cmp_ne_u32_e32 vcc_lo, v12, v22
	s_delay_alu instid0(VALU_DEP_4) | instskip(NEXT) | instid1(VALU_DEP_4)
	v_sub_nc_u32_e32 v24, 0x3f1, v23
	v_lshl_or_b32 v17, v2, 16, v17
	s_delay_alu instid0(VALU_DEP_4) | instskip(SKIP_3) | instid1(VALU_DEP_4)
	v_and_or_b32 v22, 0xffe, v16, v15
	v_cndmask_b32_e64 v12, 0, 1, vcc_lo
	v_mad_u64_u32 v[15:16], null, s5, v50, v[0:1]
	v_cmp_gt_i32_e32 vcc_lo, 1, v20
	v_or_b32_e32 v16, 0x1000, v22
	s_delay_alu instid0(VALU_DEP_4) | instskip(SKIP_4) | instid1(VALU_DEP_4)
	v_or_b32_e32 v0, v18, v12
	v_lshl_or_b32 v12, v20, 12, v7
	v_med3_i32 v18, v24, 0, 13
	v_mul_f64 v[5:6], v[5:6], s[8:9]
	v_lshrrev_b32_e32 v1, 16, v1
	v_cndmask_b32_e32 v0, v12, v0, vcc_lo
	v_mov_b32_e32 v12, v15
	v_lshrrev_b32_e32 v15, v18, v16
	s_delay_alu instid0(VALU_DEP_3) | instskip(SKIP_1) | instid1(VALU_DEP_3)
	v_and_b32_e32 v21, 7, v0
	v_lshrrev_b32_e32 v0, 2, v0
	v_lshlrev_b32_e32 v2, v18, v15
	v_mul_f64 v[13:14], v[13:14], s[8:9]
	v_lshlrev_b64 v[11:12], 2, v[11:12]
	v_cmp_lt_i32_e32 vcc_lo, 5, v21
	v_cmp_eq_u32_e64 s0, 3, v21
	v_cmp_ne_u32_e64 s1, v2, v16
	v_add_nc_u32_e32 v16, 0xfffffc10, v23
	v_lshrrev_b32_e32 v18, 16, v8
	s_delay_alu instid0(VALU_DEP_4) | instskip(NEXT) | instid1(VALU_DEP_3)
	s_or_b32 vcc_lo, s0, vcc_lo
	v_cndmask_b32_e64 v2, 0, 1, s1
	v_add_co_ci_u32_e32 v0, vcc_lo, 0, v0, vcc_lo
	v_cmp_ne_u32_e32 vcc_lo, 0, v7
	s_delay_alu instid0(VALU_DEP_3) | instskip(SKIP_3) | instid1(VALU_DEP_2)
	v_or_b32_e32 v2, v15, v2
	v_lshl_or_b32 v15, v16, 12, v22
	v_cndmask_b32_e64 v7, 0, 1, vcc_lo
	v_cmp_gt_i32_e32 vcc_lo, 31, v20
	v_lshl_or_b32 v7, v7, 9, 0x7c00
	v_cndmask_b32_e32 v0, 0x7c00, v0, vcc_lo
	v_cmp_gt_i32_e32 vcc_lo, 1, v16
	v_and_or_b32 v5, 0x1ff, v6, v5
	v_cndmask_b32_e32 v2, v15, v2, vcc_lo
	v_add_co_u32 v11, vcc_lo, v3, v11
	v_add_co_ci_u32_e32 v12, vcc_lo, v4, v12, vcc_lo
	s_delay_alu instid0(VALU_DEP_3)
	v_and_b32_e32 v15, 7, v2
	v_cmp_eq_u32_e32 vcc_lo, 0x40f, v20
	v_lshrrev_b32_e32 v2, 2, v2
	v_cmp_ne_u32_e64 s1, 0, v5
	v_and_or_b32 v8, 0x1ff, v14, v13
	v_cmp_eq_u32_e64 s0, 3, v15
	v_cndmask_b32_e32 v0, v0, v7, vcc_lo
	v_cmp_lt_i32_e32 vcc_lo, 5, v15
	v_cndmask_b32_e64 v5, 0, 1, s1
	v_lshrrev_b32_e32 v7, 8, v6
	v_bfe_u32 v15, v6, 20, 11
	v_lshrrev_b32_e32 v21, 8, v14
	s_or_b32 vcc_lo, s0, vcc_lo
	v_and_or_b32 v18, 0x8000, v18, v0
	v_add_co_ci_u32_e32 v2, vcc_lo, 0, v2, vcc_lo
	v_cmp_ne_u32_e32 vcc_lo, 0, v22
	v_and_or_b32 v5, 0xffe, v7, v5
	v_sub_nc_u32_e32 v7, 0x3f1, v15
	v_bfe_u32 v22, v14, 20, 11
	v_add_nc_u32_e32 v15, 0xfffffc10, v15
	v_cndmask_b32_e64 v13, 0, 1, vcc_lo
	v_cmp_ne_u32_e32 vcc_lo, 0, v8
	v_or_b32_e32 v20, 0x1000, v5
	v_med3_i32 v7, v7, 0, 13
	v_and_b32_e32 v18, 0xffff, v18
	v_lshl_or_b32 v13, v13, 9, 0x7c00
	v_cndmask_b32_e64 v8, 0, 1, vcc_lo
	v_cmp_gt_i32_e32 vcc_lo, 31, v16
	v_lshrrev_b32_e32 v23, v7, v20
	v_cmp_gt_i32_e64 s1, 31, v15
	v_lshrrev_b32_e32 v14, 16, v14
	v_and_or_b32 v21, 0xffe, v21, v8
	v_cndmask_b32_e32 v2, 0x7c00, v2, vcc_lo
	v_cmp_eq_u32_e32 vcc_lo, 0x40f, v16
	v_sub_nc_u32_e32 v8, 0x3f1, v22
	s_delay_alu instid0(VALU_DEP_4) | instskip(NEXT) | instid1(VALU_DEP_4)
	v_or_b32_e32 v16, 0x1000, v21
	v_dual_cndmask_b32 v2, v2, v13 :: v_dual_lshlrev_b32 v13, v7, v23
	s_delay_alu instid0(VALU_DEP_3) | instskip(SKIP_1) | instid1(VALU_DEP_3)
	v_med3_i32 v24, v8, 0, 13
	v_mad_u64_u32 v[7:8], null, s4, v49, 0
	v_and_or_b32 v25, 0x8000, v1, v2
	s_delay_alu instid0(VALU_DEP_4) | instskip(NEXT) | instid1(VALU_DEP_4)
	v_cmp_ne_u32_e32 vcc_lo, v13, v20
	v_lshrrev_b32_e32 v20, v24, v16
	v_cndmask_b32_e64 v13, 0, 1, vcc_lo
	s_delay_alu instid0(VALU_DEP_2) | instskip(SKIP_2) | instid1(VALU_DEP_4)
	v_lshlrev_b32_e32 v24, v24, v20
	v_cmp_gt_i32_e32 vcc_lo, 1, v15
	v_mov_b32_e32 v0, v8
	v_or_b32_e32 v13, v23, v13
	v_lshl_or_b32 v23, v15, 12, v5
	s_delay_alu instid0(VALU_DEP_3) | instskip(NEXT) | instid1(VALU_DEP_2)
	v_mad_u64_u32 v[1:2], null, s5, v49, v[0:1]
	v_cndmask_b32_e32 v13, v23, v13, vcc_lo
	v_cmp_ne_u32_e32 vcc_lo, v24, v16
	v_add_nc_u32_e32 v16, 0xfffffc10, v22
	s_delay_alu instid0(VALU_DEP_3) | instskip(SKIP_1) | instid1(VALU_DEP_3)
	v_and_b32_e32 v0, 7, v13
	v_cndmask_b32_e64 v8, 0, 1, vcc_lo
	v_cmp_gt_i32_e64 s0, 1, v16
	s_delay_alu instid0(VALU_DEP_3) | instskip(NEXT) | instid1(VALU_DEP_3)
	v_cmp_lt_i32_e32 vcc_lo, 5, v0
	v_or_b32_e32 v2, v20, v8
	v_lshl_or_b32 v8, v16, 12, v21
	s_delay_alu instid0(VALU_DEP_1)
	v_cndmask_b32_e64 v2, v8, v2, s0
	v_cmp_eq_u32_e64 s0, 3, v0
	v_lshrrev_b32_e32 v0, 2, v13
	v_mov_b32_e32 v8, v1
	v_lshl_or_b32 v13, v25, 16, v18
	v_and_b32_e32 v1, 7, v2
	s_or_b32 vcc_lo, s0, vcc_lo
	v_add_co_ci_u32_e32 v0, vcc_lo, 0, v0, vcc_lo
	v_cmp_ne_u32_e32 vcc_lo, 0, v5
	s_delay_alu instid0(VALU_DEP_3) | instskip(SKIP_4) | instid1(VALU_DEP_4)
	v_cmp_eq_u32_e64 s0, 3, v1
	v_cndmask_b32_e64 v5, 0, 1, vcc_lo
	v_cmp_lt_i32_e32 vcc_lo, 5, v1
	v_lshrrev_b32_e32 v1, 2, v2
	v_cndmask_b32_e64 v2, 0x7c00, v0, s1
	v_lshl_or_b32 v5, v5, 9, 0x7c00
	s_or_b32 vcc_lo, s0, vcc_lo
	s_delay_alu instid0(VALU_DEP_3) | instskip(SKIP_4) | instid1(VALU_DEP_2)
	v_add_co_ci_u32_e32 v18, vcc_lo, 0, v1, vcc_lo
	v_cmp_ne_u32_e32 vcc_lo, 0, v21
	v_mad_u64_u32 v[0:1], null, 0x1180, s4, v[9:10]
	v_cndmask_b32_e64 v20, 0, 1, vcc_lo
	v_cmp_gt_i32_e32 vcc_lo, 31, v16
	v_lshl_or_b32 v20, v20, 9, 0x7c00
	v_cndmask_b32_e32 v18, 0x7c00, v18, vcc_lo
	v_cmp_eq_u32_e32 vcc_lo, 0x40f, v15
	v_cndmask_b32_e32 v2, v2, v5, vcc_lo
	v_lshrrev_b32_e32 v5, 16, v6
	v_cmp_eq_u32_e32 vcc_lo, 0x40f, v16
	s_delay_alu instid0(VALU_DEP_2) | instskip(SKIP_2) | instid1(VALU_DEP_3)
	v_and_or_b32 v2, 0x8000, v5, v2
	v_cndmask_b32_e32 v15, v18, v20, vcc_lo
	v_lshlrev_b64 v[5:6], 2, v[7:8]
	v_mad_u64_u32 v[7:8], null, 0x1180, s5, v[1:2]
	s_delay_alu instid0(VALU_DEP_3) | instskip(SKIP_1) | instid1(VALU_DEP_4)
	v_and_or_b32 v1, 0x8000, v14, v15
	v_and_b32_e32 v8, 0xffff, v2
	v_add_co_u32 v2, vcc_lo, v3, v5
	v_add_co_ci_u32_e32 v3, vcc_lo, v4, v6, vcc_lo
	s_delay_alu instid0(VALU_DEP_3)
	v_lshl_or_b32 v4, v1, 16, v8
	v_mov_b32_e32 v1, v7
	global_store_b32 v[9:10], v19, off
	s_clause 0x1
	global_store_b32 v[11:12], v17, off
	global_store_b32 v[2:3], v13, off
	;; [unrolled: 1-line block ×3, first 2 shown]
.LBB0_10:
	s_nop 0
	s_sendmsg sendmsg(MSG_DEALLOC_VGPRS)
	s_endpgm
	.section	.rodata,"a",@progbits
	.p2align	6, 0x0
	.amdhsa_kernel bluestein_single_back_len2016_dim1_half_op_CI_CI
		.amdhsa_group_segment_fixed_size 16128
		.amdhsa_private_segment_fixed_size 0
		.amdhsa_kernarg_size 104
		.amdhsa_user_sgpr_count 15
		.amdhsa_user_sgpr_dispatch_ptr 0
		.amdhsa_user_sgpr_queue_ptr 0
		.amdhsa_user_sgpr_kernarg_segment_ptr 1
		.amdhsa_user_sgpr_dispatch_id 0
		.amdhsa_user_sgpr_private_segment_size 0
		.amdhsa_wavefront_size32 1
		.amdhsa_uses_dynamic_stack 0
		.amdhsa_enable_private_segment 0
		.amdhsa_system_sgpr_workgroup_id_x 1
		.amdhsa_system_sgpr_workgroup_id_y 0
		.amdhsa_system_sgpr_workgroup_id_z 0
		.amdhsa_system_sgpr_workgroup_info 0
		.amdhsa_system_vgpr_workitem_id 0
		.amdhsa_next_free_vgpr 254
		.amdhsa_next_free_sgpr 20
		.amdhsa_reserve_vcc 1
		.amdhsa_float_round_mode_32 0
		.amdhsa_float_round_mode_16_64 0
		.amdhsa_float_denorm_mode_32 3
		.amdhsa_float_denorm_mode_16_64 3
		.amdhsa_dx10_clamp 1
		.amdhsa_ieee_mode 1
		.amdhsa_fp16_overflow 0
		.amdhsa_workgroup_processor_mode 1
		.amdhsa_memory_ordered 1
		.amdhsa_forward_progress 0
		.amdhsa_shared_vgpr_count 0
		.amdhsa_exception_fp_ieee_invalid_op 0
		.amdhsa_exception_fp_denorm_src 0
		.amdhsa_exception_fp_ieee_div_zero 0
		.amdhsa_exception_fp_ieee_overflow 0
		.amdhsa_exception_fp_ieee_underflow 0
		.amdhsa_exception_fp_ieee_inexact 0
		.amdhsa_exception_int_div_zero 0
	.end_amdhsa_kernel
	.text
.Lfunc_end0:
	.size	bluestein_single_back_len2016_dim1_half_op_CI_CI, .Lfunc_end0-bluestein_single_back_len2016_dim1_half_op_CI_CI
                                        ; -- End function
	.section	.AMDGPU.csdata,"",@progbits
; Kernel info:
; codeLenInByte = 36040
; NumSgprs: 22
; NumVgprs: 254
; ScratchSize: 0
; MemoryBound: 0
; FloatMode: 240
; IeeeMode: 1
; LDSByteSize: 16128 bytes/workgroup (compile time only)
; SGPRBlocks: 2
; VGPRBlocks: 31
; NumSGPRsForWavesPerEU: 22
; NumVGPRsForWavesPerEU: 254
; Occupancy: 5
; WaveLimiterHint : 1
; COMPUTE_PGM_RSRC2:SCRATCH_EN: 0
; COMPUTE_PGM_RSRC2:USER_SGPR: 15
; COMPUTE_PGM_RSRC2:TRAP_HANDLER: 0
; COMPUTE_PGM_RSRC2:TGID_X_EN: 1
; COMPUTE_PGM_RSRC2:TGID_Y_EN: 0
; COMPUTE_PGM_RSRC2:TGID_Z_EN: 0
; COMPUTE_PGM_RSRC2:TIDIG_COMP_CNT: 0
	.text
	.p2alignl 7, 3214868480
	.fill 96, 4, 3214868480
	.type	__hip_cuid_ae4430cd8c18f7bf,@object ; @__hip_cuid_ae4430cd8c18f7bf
	.section	.bss,"aw",@nobits
	.globl	__hip_cuid_ae4430cd8c18f7bf
__hip_cuid_ae4430cd8c18f7bf:
	.byte	0                               ; 0x0
	.size	__hip_cuid_ae4430cd8c18f7bf, 1

	.ident	"AMD clang version 19.0.0git (https://github.com/RadeonOpenCompute/llvm-project roc-6.4.0 25133 c7fe45cf4b819c5991fe208aaa96edf142730f1d)"
	.section	".note.GNU-stack","",@progbits
	.addrsig
	.addrsig_sym __hip_cuid_ae4430cd8c18f7bf
	.amdgpu_metadata
---
amdhsa.kernels:
  - .args:
      - .actual_access:  read_only
        .address_space:  global
        .offset:         0
        .size:           8
        .value_kind:     global_buffer
      - .actual_access:  read_only
        .address_space:  global
        .offset:         8
        .size:           8
        .value_kind:     global_buffer
      - .actual_access:  read_only
        .address_space:  global
        .offset:         16
        .size:           8
        .value_kind:     global_buffer
      - .actual_access:  read_only
        .address_space:  global
        .offset:         24
        .size:           8
        .value_kind:     global_buffer
      - .actual_access:  read_only
        .address_space:  global
        .offset:         32
        .size:           8
        .value_kind:     global_buffer
      - .offset:         40
        .size:           8
        .value_kind:     by_value
      - .address_space:  global
        .offset:         48
        .size:           8
        .value_kind:     global_buffer
      - .address_space:  global
        .offset:         56
        .size:           8
        .value_kind:     global_buffer
      - .address_space:  global
        .offset:         64
        .size:           8
        .value_kind:     global_buffer
      - .address_space:  global
        .offset:         72
        .size:           8
        .value_kind:     global_buffer
      - .offset:         80
        .size:           4
        .value_kind:     by_value
      - .address_space:  global
        .offset:         88
        .size:           8
        .value_kind:     global_buffer
      - .address_space:  global
        .offset:         96
        .size:           8
        .value_kind:     global_buffer
    .group_segment_fixed_size: 16128
    .kernarg_segment_align: 8
    .kernarg_segment_size: 104
    .language:       OpenCL C
    .language_version:
      - 2
      - 0
    .max_flat_workgroup_size: 224
    .name:           bluestein_single_back_len2016_dim1_half_op_CI_CI
    .private_segment_fixed_size: 0
    .sgpr_count:     22
    .sgpr_spill_count: 0
    .symbol:         bluestein_single_back_len2016_dim1_half_op_CI_CI.kd
    .uniform_work_group_size: 1
    .uses_dynamic_stack: false
    .vgpr_count:     254
    .vgpr_spill_count: 0
    .wavefront_size: 32
    .workgroup_processor_mode: 1
amdhsa.target:   amdgcn-amd-amdhsa--gfx1100
amdhsa.version:
  - 1
  - 2
...

	.end_amdgpu_metadata
